;; amdgpu-corpus repo=ROCm/rocFFT kind=compiled arch=gfx950 opt=O3
	.text
	.amdgcn_target "amdgcn-amd-amdhsa--gfx950"
	.amdhsa_code_object_version 6
	.protected	bluestein_single_fwd_len1000_dim1_sp_op_CI_CI ; -- Begin function bluestein_single_fwd_len1000_dim1_sp_op_CI_CI
	.globl	bluestein_single_fwd_len1000_dim1_sp_op_CI_CI
	.p2align	8
	.type	bluestein_single_fwd_len1000_dim1_sp_op_CI_CI,@function
bluestein_single_fwd_len1000_dim1_sp_op_CI_CI: ; @bluestein_single_fwd_len1000_dim1_sp_op_CI_CI
; %bb.0:
	s_load_dwordx4 s[16:19], s[0:1], 0x28
	v_mul_u32_u24_e32 v1, 0x290, v0
	v_add_u32_sdwa v38, s2, v1 dst_sel:DWORD dst_unused:UNUSED_PAD src0_sel:DWORD src1_sel:WORD_1
	v_mov_b32_e32 v39, 0
	s_waitcnt lgkmcnt(0)
	v_cmp_gt_u64_e32 vcc, s[16:17], v[38:39]
	s_and_saveexec_b64 s[2:3], vcc
	s_cbranch_execz .LBB0_2
; %bb.1:
	s_load_dwordx4 s[12:15], s[0:1], 0x18
	s_load_dwordx4 s[8:11], s[0:1], 0x0
	v_mov_b32_e32 v2, s18
	v_mov_b32_e32 v3, s19
	s_mov_b32 s16, 0xbf167918
	s_waitcnt lgkmcnt(0)
	s_load_dwordx4 s[4:7], s[14:15], 0x0
	s_waitcnt lgkmcnt(0)
	v_mad_u64_u32 v[42:43], s[2:3], s6, v38, 0
	s_load_dwordx4 s[12:15], s[12:13], 0x0
	v_mov_b32_e32 v6, v43
	v_mad_u64_u32 v[52:53], s[2:3], s7, v38, v[6:7]
	s_load_dwordx2 s[0:1], s[0:1], 0x38
	s_waitcnt lgkmcnt(0)
	v_mad_u64_u32 v[4:5], s[2:3], s14, v38, 0
	v_mov_b32_e32 v6, v5
	v_mad_u64_u32 v[6:7], s[2:3], s15, v38, v[6:7]
	s_movk_i32 s2, 0x64
	s_nop 0
	v_mul_lo_u16_sdwa v1, v1, s2 dst_sel:DWORD dst_unused:UNUSED_PAD src0_sel:WORD_1 src1_sel:DWORD
	v_sub_u16_e32 v53, v0, v1
	v_mad_u64_u32 v[0:1], s[2:3], s12, v53, 0
	v_mov_b32_e32 v5, v6
	v_mov_b32_e32 v6, v1
	v_mad_u64_u32 v[6:7], s[2:3], s13, v53, v[6:7]
	v_mov_b32_e32 v1, v6
	v_lshl_add_u64 v[2:3], v[4:5], 3, v[2:3]
	v_lshlrev_b32_e32 v38, 3, v53
	v_lshl_add_u64 v[0:1], v[0:1], 3, v[2:3]
	v_lshl_add_u64 v[58:59], s[8:9], 0, v[38:39]
	v_mov_b32_e32 v39, 0x320
	global_load_dwordx2 v[2:3], v[0:1], off
	v_mad_u64_u32 v[0:1], s[2:3], s12, v39, v[0:1]
	s_mul_i32 s6, s13, 0x320
	v_add_u32_e32 v1, s6, v1
	global_load_dwordx2 v[4:5], v[0:1], off
	v_mad_u64_u32 v[0:1], s[2:3], s12, v39, v[0:1]
	v_add_u32_e32 v1, s6, v1
	v_mad_u64_u32 v[6:7], s[2:3], s12, v39, v[0:1]
	v_add_u32_e32 v7, s6, v7
	;; [unrolled: 2-line block ×3, first 2 shown]
	global_load_dwordx2 v[56:57], v38, s[8:9]
	global_load_dwordx2 v[54:55], v38, s[8:9] offset:800
	global_load_dwordx2 v[50:51], v38, s[8:9] offset:1600
	;; [unrolled: 1-line block ×3, first 2 shown]
	global_load_dwordx2 v[10:11], v[0:1], off
	global_load_dwordx2 v[12:13], v[6:7], off
	global_load_dwordx2 v[14:15], v[8:9], off
	v_mad_u64_u32 v[0:1], s[2:3], s12, v39, v[8:9]
	v_add_u32_e32 v1, s6, v1
	global_load_dwordx2 v[6:7], v[0:1], off
	global_load_dwordx2 v[48:49], v38, s[8:9] offset:3200
	global_load_dwordx2 v[44:45], v38, s[8:9] offset:4000
	v_mad_u64_u32 v[0:1], s[2:3], s12, v39, v[0:1]
	v_add_u32_e32 v1, s6, v1
	s_movk_i32 s2, 0x1000
	global_load_dwordx2 v[8:9], v[0:1], off
	v_add_co_u32_e32 v80, vcc, s2, v58
	v_mad_u64_u32 v[0:1], s[2:3], s12, v39, v[0:1]
	s_nop 0
	v_addc_co_u32_e32 v81, vcc, 0, v59, vcc
	v_add_u32_e32 v1, s6, v1
	global_load_dwordx2 v[40:41], v[80:81], off offset:704
	global_load_dwordx2 v[16:17], v[0:1], off
	global_load_dwordx2 v[36:37], v[80:81], off offset:1504
	v_mad_u64_u32 v[0:1], s[2:3], s12, v39, v[0:1]
	v_add_u32_e32 v1, s6, v1
	global_load_dwordx2 v[18:19], v[0:1], off
	global_load_dwordx2 v[34:35], v[80:81], off offset:2304
	v_mad_u64_u32 v[0:1], s[2:3], s12, v39, v[0:1]
	v_add_u32_e32 v1, s6, v1
	global_load_dwordx2 v[32:33], v[80:81], off offset:3104
	global_load_dwordx2 v[20:21], v[0:1], off
	v_add_u32_e32 v69, 0x400, v38
	v_add_u32_e32 v67, 0x800, v38
	;; [unrolled: 1-line block ×4, first 2 shown]
	s_mov_b32 s8, 0x3f737871
	s_mov_b32 s2, 0x3f167918
	;; [unrolled: 1-line block ×7, first 2 shown]
	s_waitcnt vmcnt(17)
	v_mul_f32_e32 v0, v3, v57
	v_mul_f32_e32 v1, v2, v57
	v_fmac_f32_e32 v0, v2, v56
	v_fma_f32 v1, v3, v56, -v1
	s_waitcnt vmcnt(16)
	v_mul_f32_e32 v2, v5, v55
	v_mul_f32_e32 v3, v4, v55
	v_fmac_f32_e32 v2, v4, v54
	v_fma_f32 v3, v5, v54, -v3
	ds_write2_b64 v38, v[0:1], v[2:3] offset1:100
	s_waitcnt vmcnt(13)
	v_mul_f32_e32 v0, v11, v51
	v_mul_f32_e32 v1, v10, v51
	s_waitcnt vmcnt(12)
	v_mul_f32_e32 v2, v13, v47
	v_mul_f32_e32 v3, v12, v47
	v_fmac_f32_e32 v0, v10, v50
	v_fma_f32 v1, v11, v50, -v1
	v_fmac_f32_e32 v2, v12, v46
	v_fma_f32 v3, v13, v46, -v3
	ds_write2_b64 v69, v[0:1], v[2:3] offset0:72 offset1:172
	s_waitcnt vmcnt(9)
	v_mul_f32_e32 v0, v15, v49
	v_mul_f32_e32 v1, v14, v49
	s_waitcnt vmcnt(8)
	v_mul_f32_e32 v2, v7, v45
	v_mul_f32_e32 v3, v6, v45
	v_fmac_f32_e32 v0, v14, v48
	v_fma_f32 v1, v15, v48, -v1
	v_fmac_f32_e32 v2, v6, v44
	v_fma_f32 v3, v7, v44, -v3
	ds_write2_b64 v67, v[0:1], v[2:3] offset0:144 offset1:244
	;; [unrolled: 11-line block ×4, first 2 shown]
	s_waitcnt lgkmcnt(0)
	s_barrier
	ds_read2_b64 v[0:3], v38 offset1:100
	ds_read2_b64 v[4:7], v69 offset0:72 offset1:172
	ds_read2_b64 v[8:11], v61 offset0:32 offset1:132
	;; [unrolled: 1-line block ×4, first 2 shown]
	s_waitcnt lgkmcnt(0)
	v_pk_add_f32 v[20:21], v[0:1], v[4:5]
	v_pk_add_f32 v[22:23], v[2:3], v[6:7]
	v_pk_add_f32 v[30:31], v[6:7], v[10:11] neg_lo:[0,1] neg_hi:[0,1]
	v_pk_add_f32 v[64:65], v[6:7], v[10:11]
	v_pk_add_f32 v[70:71], v[14:15], v[6:7] neg_lo:[0,1] neg_hi:[0,1]
	v_pk_add_f32 v[72:73], v[6:7], v[14:15] neg_lo:[0,1] neg_hi:[0,1]
	v_pk_add_f32 v[6:7], v[20:21], v[12:13]
	v_pk_add_f32 v[20:21], v[22:23], v[14:15]
	v_pk_add_f32 v[24:25], v[4:5], v[8:9] neg_lo:[0,1] neg_hi:[0,1]
	v_pk_add_f32 v[26:27], v[4:5], v[12:13] neg_lo:[0,1] neg_hi:[0,1]
	v_pk_add_f32 v[28:29], v[4:5], v[8:9]
	v_pk_add_f32 v[4:5], v[12:13], v[4:5] neg_lo:[0,1] neg_hi:[0,1]
	v_pk_add_f32 v[22:23], v[12:13], v[16:17]
	v_pk_add_f32 v[12:13], v[12:13], v[16:17] neg_lo:[0,1] neg_hi:[0,1]
	v_pk_add_f32 v[74:75], v[14:15], v[18:19] neg_lo:[0,1] neg_hi:[0,1]
	v_pk_add_f32 v[6:7], v[6:7], v[16:17]
	v_pk_add_f32 v[20:21], v[20:21], v[18:19]
	v_pk_add_f32 v[76:77], v[8:9], v[16:17] neg_lo:[0,1] neg_hi:[0,1]
	v_pk_add_f32 v[16:17], v[16:17], v[8:9] neg_lo:[0,1] neg_hi:[0,1]
	v_pk_add_f32 v[14:15], v[14:15], v[18:19]
	v_pk_add_f32 v[78:79], v[18:19], v[10:11] neg_lo:[0,1] neg_hi:[0,1]
	v_pk_add_f32 v[18:19], v[10:11], v[18:19] neg_lo:[0,1] neg_hi:[0,1]
	v_pk_add_f32 v[10:11], v[20:21], v[10:11]
	v_pk_add_f32 v[4:5], v[4:5], v[16:17]
	v_pk_fma_f32 v[16:17], v[64:65], 0.5, v[2:3] op_sel_hi:[1,0,1] neg_lo:[1,0,0] neg_hi:[1,0,0]
	v_pk_mul_f32 v[20:21], v[74:75], s[8:9] op_sel_hi:[1,0]
	v_pk_add_f32 v[8:9], v[6:7], v[8:9]
	v_pk_add_f32 v[64:65], v[16:17], v[20:21] op_sel:[0,1] op_sel_hi:[1,0] neg_lo:[0,1] neg_hi:[0,1]
	v_pk_add_f32 v[16:17], v[16:17], v[20:21] op_sel:[0,1] op_sel_hi:[1,0]
	v_pk_mul_f32 v[20:21], v[30:31], s[2:3] op_sel_hi:[1,0]
	v_pk_add_f32 v[6:7], v[70:71], v[78:79]
	v_pk_add_f32 v[16:17], v[16:17], v[20:21] op_sel:[0,1] op_sel_hi:[1,0] neg_lo:[0,1] neg_hi:[0,1]
	v_pk_add_f32 v[20:21], v[64:65], v[20:21] op_sel:[0,1] op_sel_hi:[1,0]
	v_mov_b32_e32 v65, v17
	v_mov_b32_e32 v64, v20
	v_pk_fma_f32 v[64:65], v[6:7], s[6:7], v[64:65] op_sel_hi:[1,0,1]
	v_pk_fma_f32 v[28:29], v[28:29], 0.5, v[0:1] op_sel_hi:[1,0,1] neg_lo:[1,0,0] neg_hi:[1,0,0]
	v_pk_mul_f32 v[70:71], v[64:65], s[8:9] op_sel_hi:[1,0]
	v_mov_b32_e32 v17, v21
	v_pk_fma_f32 v[78:79], v[64:65], s[6:7], v[70:71] op_sel:[0,0,1] op_sel_hi:[1,0,0]
	v_pk_fma_f32 v[64:65], v[64:65], s[6:7], v[70:71] op_sel:[0,0,1] op_sel_hi:[1,0,0] neg_lo:[0,0,1] neg_hi:[0,0,1]
	v_pk_fma_f32 v[6:7], v[6:7], s[6:7], v[16:17] op_sel_hi:[1,0,1]
	v_mov_b32_e32 v79, v65
	v_pk_mul_f32 v[64:65], v[12:13], s[8:9] op_sel_hi:[1,0]
	v_pk_mul_f32 v[16:17], v[6:7], s[6:7] op_sel_hi:[1,0]
	v_pk_add_f32 v[70:71], v[28:29], v[64:65] op_sel:[0,1] op_sel_hi:[1,0] neg_lo:[0,1] neg_hi:[0,1]
	v_pk_add_f32 v[28:29], v[28:29], v[64:65] op_sel:[0,1] op_sel_hi:[1,0]
	v_pk_mul_f32 v[64:65], v[24:25], s[2:3] op_sel_hi:[1,0]
	v_pk_fma_f32 v[16:17], v[6:7], s[14:15], v[16:17] op_sel:[0,0,1] op_sel_hi:[1,1,0] neg_lo:[0,0,1] neg_hi:[0,0,1]
	v_pk_add_f32 v[28:29], v[28:29], v[64:65] op_sel:[0,1] op_sel_hi:[1,0] neg_lo:[0,1] neg_hi:[0,1]
	v_pk_add_f32 v[64:65], v[70:71], v[64:65] op_sel:[0,1] op_sel_hi:[1,0]
	v_mov_b32_e32 v7, v29
	v_mov_b32_e32 v6, v64
	;; [unrolled: 1-line block ×3, first 2 shown]
	v_pk_fma_f32 v[20:21], v[4:5], s[6:7], v[6:7] op_sel_hi:[1,0,1]
	v_pk_fma_f32 v[28:29], v[4:5], s[6:7], v[28:29] op_sel_hi:[1,0,1]
	v_mul_lo_u16_e32 v4, 10, v53
	v_lshlrev_b32_e32 v71, 3, v4
	v_pk_add_f32 v[4:5], v[20:21], v[78:79]
	v_pk_add_f32 v[6:7], v[28:29], v[16:17] op_sel:[0,1] op_sel_hi:[1,0]
	s_barrier
	ds_write_b128 v71, v[4:7] offset:16
	v_pk_fma_f32 v[0:1], v[22:23], 0.5, v[0:1] op_sel_hi:[1,0,1] neg_lo:[1,0,0] neg_hi:[1,0,0]
	v_pk_mul_f32 v[6:7], v[24:25], s[8:9] op_sel_hi:[1,0]
	v_pk_fma_f32 v[2:3], v[14:15], 0.5, v[2:3] op_sel_hi:[1,0,1] neg_lo:[1,0,0] neg_hi:[1,0,0]
	v_pk_add_f32 v[14:15], v[0:1], v[6:7] op_sel:[0,1] op_sel_hi:[1,0]
	v_pk_add_f32 v[0:1], v[0:1], v[6:7] op_sel:[0,1] op_sel_hi:[1,0] neg_lo:[0,1] neg_hi:[0,1]
	v_pk_mul_f32 v[6:7], v[12:13], s[2:3] op_sel_hi:[1,0]
	v_pk_add_f32 v[4:5], v[26:27], v[76:77]
	v_pk_add_f32 v[12:13], v[0:1], v[6:7] op_sel:[0,1] op_sel_hi:[1,0] neg_lo:[0,1] neg_hi:[0,1]
	v_pk_add_f32 v[6:7], v[14:15], v[6:7] op_sel:[0,1] op_sel_hi:[1,0]
	v_pk_mul_f32 v[14:15], v[30:31], s[8:9] op_sel_hi:[1,0]
	v_pk_add_f32 v[0:1], v[72:73], v[18:19]
	v_pk_add_f32 v[18:19], v[2:3], v[14:15] op_sel:[0,1] op_sel_hi:[1,0]
	v_pk_add_f32 v[2:3], v[2:3], v[14:15] op_sel:[0,1] op_sel_hi:[1,0] neg_lo:[0,1] neg_hi:[0,1]
	v_pk_mul_f32 v[14:15], v[74:75], s[2:3] op_sel_hi:[1,0]
	s_mov_b32 s3, s12
	v_pk_add_f32 v[18:19], v[14:15], v[18:19] op_sel:[1,0] op_sel_hi:[0,1]
	v_pk_add_f32 v[2:3], v[2:3], v[14:15] op_sel:[0,1] op_sel_hi:[1,0] neg_lo:[0,1] neg_hi:[0,1]
	s_nop 0
	v_pk_fma_f32 v[14:15], v[0:1], s[6:7], v[2:3] op_sel_hi:[1,0,1]
	v_mov_b32_e32 v3, v19
	v_pk_fma_f32 v[22:23], v[0:1], s[6:7], v[2:3] op_sel_hi:[1,0,1]
	v_pk_fma_f32 v[18:19], v[0:1], s[6:7], v[18:19] op_sel_hi:[1,0,1]
	v_pk_mul_f32 v[24:25], v[22:23], s[12:13] op_sel_hi:[1,0]
	s_mov_b32 s13, s2
	v_pk_mul_f32 v[0:1], v[18:19], s[12:13] op_sel_hi:[0,1]
	v_pk_fma_f32 v[18:19], v[14:15], s[2:3], v[0:1] op_sel:[1,0,0]
	v_pk_fma_f32 v[0:1], v[14:15], s[2:3], v[0:1] op_sel:[1,0,0] neg_lo:[0,0,1] neg_hi:[0,0,1]
	s_nop 0
	v_mov_b32_e32 v19, v1
	v_mov_b32_e32 v0, v6
	;; [unrolled: 1-line block ×4, first 2 shown]
	v_pk_fma_f32 v[14:15], v[4:5], s[6:7], v[0:1] op_sel_hi:[1,0,1]
	v_pk_fma_f32 v[4:5], v[4:5], s[6:7], v[12:13] op_sel_hi:[1,0,1]
	v_pk_fma_f32 v[6:7], v[22:23], s[16:17], v[24:25] op_sel:[0,0,1] op_sel_hi:[1,1,0] neg_lo:[0,0,1] neg_hi:[0,0,1]
	v_pk_add_f32 v[0:1], v[8:9], v[10:11]
	v_pk_add_f32 v[2:3], v[14:15], v[18:19]
	v_pk_add_f32 v[12:13], v[4:5], v[6:7] op_sel:[1,0] op_sel_hi:[0,1]
	ds_write_b128 v71, v[0:3]
	v_pk_add_f32 v[2:3], v[8:9], v[10:11] neg_lo:[0,1] neg_hi:[0,1]
	v_mov_b32_e32 v0, v13
	v_mov_b32_e32 v1, v12
	ds_write_b128 v71, v[0:3] offset:32
	v_pk_add_f32 v[0:1], v[14:15], v[18:19] neg_lo:[0,1] neg_hi:[0,1]
	v_pk_add_f32 v[2:3], v[20:21], v[78:79] neg_lo:[0,1] neg_hi:[0,1]
	v_pk_add_f32 v[4:5], v[4:5], v[6:7] op_sel:[1,0] op_sel_hi:[0,1] neg_lo:[0,1] neg_hi:[0,1]
	ds_write_b128 v71, v[0:3] offset:48
	v_pk_add_f32 v[0:1], v[28:29], v[16:17] op_sel:[0,1] op_sel_hi:[1,0] neg_lo:[0,1] neg_hi:[0,1]
	v_mov_b32_e32 v2, v5
	v_mov_b32_e32 v3, v4
	s_movk_i32 s7, 0xcd
	ds_write_b128 v71, v[0:3] offset:64
	v_mul_lo_u16_sdwa v0, v53, s7 dst_sel:DWORD dst_unused:UNUSED_PAD src0_sel:BYTE_0 src1_sel:DWORD
	v_lshrrev_b16_e32 v43, 11, v0
	v_mul_lo_u16_e32 v0, 10, v43
	v_sub_u16_e32 v0, v53, v0
	v_and_b32_e32 v60, 0xff, v0
	s_movk_i32 s7, 0x48
	v_mov_b64_e32 v[0:1], s[10:11]
	v_mad_u64_u32 v[2:3], s[10:11], v60, s7, v[0:1]
	s_waitcnt lgkmcnt(0)
	s_barrier
	global_load_dwordx4 v[8:11], v[2:3], off
	global_load_dwordx4 v[12:15], v[2:3], off offset:16
	global_load_dwordx4 v[20:23], v[2:3], off offset:32
	;; [unrolled: 1-line block ×3, first 2 shown]
	global_load_dwordx2 v[74:75], v[2:3], off offset:64
	ds_read2_b64 v[2:5], v69 offset0:72 offset1:172
	ds_read2_b64 v[16:19], v67 offset0:144 offset1:244
	v_mul_u32_u24_e32 v43, 0x64, v43
	v_add_lshl_u32 v43, v43, v60, 3
	s_waitcnt vmcnt(4)
	v_mov_b32_e32 v68, v11
	s_waitcnt lgkmcnt(1)
	v_pk_mul_f32 v[6:7], v[2:3], v[68:69] op_sel_hi:[1,0]
	s_waitcnt vmcnt(3)
	v_mov_b32_e32 v70, v15
	v_pk_fma_f32 v[24:25], v[2:3], v[10:11], v[6:7] op_sel:[0,0,1] op_sel_hi:[1,1,0] neg_lo:[0,0,1] neg_hi:[0,0,1]
	v_pk_fma_f32 v[6:7], v[2:3], v[10:11], v[6:7] op_sel:[0,0,1] op_sel_hi:[1,0,0]
	v_pk_mul_f32 v[2:3], v[4:5], v[12:13] op_sel:[0,1]
	v_mov_b32_e32 v25, v7
	v_pk_fma_f32 v[26:27], v[4:5], v[12:13], v[2:3] op_sel:[0,0,1] op_sel_hi:[1,1,0] neg_lo:[0,0,1] neg_hi:[0,0,1]
	v_pk_fma_f32 v[64:65], v[4:5], v[12:13], v[2:3] op_sel:[0,0,1] op_sel_hi:[1,0,0]
	s_waitcnt lgkmcnt(0)
	v_pk_mul_f32 v[2:3], v[16:17], v[70:71] op_sel_hi:[1,0]
	v_mov_b32_e32 v27, v65
	v_pk_fma_f32 v[72:73], v[16:17], v[14:15], v[2:3] op_sel:[0,0,1] op_sel_hi:[1,1,0] neg_lo:[0,0,1] neg_hi:[0,0,1]
	v_pk_fma_f32 v[76:77], v[16:17], v[14:15], v[2:3] op_sel:[0,0,1] op_sel_hi:[1,0,0]
	ds_read2_b64 v[2:5], v63 offset0:88 offset1:188
	s_waitcnt vmcnt(2)
	v_pk_mul_f32 v[16:17], v[18:19], v[20:21] op_sel:[0,1]
	v_mov_b32_e32 v76, v23
	v_pk_fma_f32 v[82:83], v[18:19], v[20:21], v[16:17] op_sel:[0,0,1] op_sel_hi:[1,1,0] neg_lo:[0,0,1] neg_hi:[0,0,1]
	v_pk_fma_f32 v[78:79], v[18:19], v[20:21], v[16:17] op_sel:[0,0,1] op_sel_hi:[1,0,0]
	s_waitcnt lgkmcnt(0)
	v_pk_mul_f32 v[16:17], v[2:3], v[76:77] op_sel_hi:[1,0]
	s_waitcnt vmcnt(1)
	v_mov_b32_e32 v78, v31
	v_pk_fma_f32 v[84:85], v[2:3], v[22:23], v[16:17] op_sel:[0,0,1] op_sel_hi:[1,1,0] neg_lo:[0,0,1] neg_hi:[0,0,1]
	v_pk_fma_f32 v[86:87], v[2:3], v[22:23], v[16:17] op_sel:[0,0,1] op_sel_hi:[1,0,0]
	ds_read2_b64 v[16:19], v61 offset0:32 offset1:132
	v_pk_mul_f32 v[2:3], v[4:5], v[28:29] op_sel:[0,1]
	v_mov_b32_e32 v73, v77
	v_pk_fma_f32 v[88:89], v[4:5], v[28:29], v[2:3] op_sel:[0,0,1] op_sel_hi:[1,1,0] neg_lo:[0,0,1] neg_hi:[0,0,1]
	v_pk_fma_f32 v[90:91], v[4:5], v[28:29], v[2:3] op_sel:[0,0,1] op_sel_hi:[1,0,0]
	ds_read2_b64 v[2:5], v38 offset1:100
	s_waitcnt lgkmcnt(1)
	v_pk_mul_f32 v[92:93], v[16:17], v[78:79] op_sel_hi:[1,0]
	v_mov_b32_e32 v85, v87
	v_pk_fma_f32 v[94:95], v[16:17], v[30:31], v[92:93] op_sel:[0,0,1] op_sel_hi:[1,1,0] neg_lo:[0,0,1] neg_hi:[0,0,1]
	v_pk_fma_f32 v[16:17], v[16:17], v[30:31], v[92:93] op_sel:[0,0,1] op_sel_hi:[1,0,0]
	s_waitcnt vmcnt(0)
	v_pk_mul_f32 v[92:93], v[18:19], v[74:75] op_sel:[0,1]
	v_mov_b32_e32 v95, v17
	v_pk_fma_f32 v[96:97], v[18:19], v[74:75], v[92:93] op_sel:[0,0,1] op_sel_hi:[1,1,0] neg_lo:[0,0,1] neg_hi:[0,0,1]
	v_pk_fma_f32 v[18:19], v[18:19], v[74:75], v[92:93] op_sel:[0,0,1] op_sel_hi:[1,0,0]
	s_waitcnt lgkmcnt(0)
	v_pk_mul_f32 v[92:93], v[4:5], v[8:9] op_sel:[0,1]
	v_pk_add_f32 v[6:7], v[94:95], v[84:85] neg_lo:[0,1] neg_hi:[0,1]
	v_pk_fma_f32 v[98:99], v[4:5], v[8:9], v[92:93] op_sel:[0,0,1] op_sel_hi:[1,1,0] neg_lo:[0,0,1] neg_hi:[0,0,1]
	v_pk_fma_f32 v[4:5], v[4:5], v[8:9], v[92:93] op_sel:[0,0,1] op_sel_hi:[1,0,0]
	v_pk_add_f32 v[16:17], v[24:25], v[94:95] neg_lo:[0,1] neg_hi:[0,1]
	v_mov_b32_e32 v99, v5
	v_pk_add_f32 v[4:5], v[24:25], v[72:73] neg_lo:[0,1] neg_hi:[0,1]
	v_mov_b32_e32 v97, v19
	v_pk_add_f32 v[4:5], v[4:5], v[6:7]
	v_pk_add_f32 v[6:7], v[72:73], v[84:85]
	v_pk_mul_f32 v[18:19], v[16:17], s[8:9] op_sel_hi:[1,0]
	v_pk_fma_f32 v[6:7], v[6:7], 0.5, v[2:3] op_sel_hi:[1,0,1] neg_lo:[1,0,0] neg_hi:[1,0,0]
	v_mov_b32_e32 v83, v79
	v_pk_add_f32 v[64:65], v[6:7], v[18:19] op_sel:[0,1] op_sel_hi:[1,0]
	v_pk_add_f32 v[6:7], v[6:7], v[18:19] op_sel:[0,1] op_sel_hi:[1,0] neg_lo:[0,1] neg_hi:[0,1]
	v_pk_add_f32 v[18:19], v[72:73], v[84:85] neg_lo:[0,1] neg_hi:[0,1]
	v_mov_b32_e32 v89, v91
	v_pk_mul_f32 v[86:87], v[18:19], s[2:3] op_sel_hi:[1,0]
	v_pk_add_f32 v[90:91], v[96:97], v[88:89] neg_lo:[0,1] neg_hi:[0,1]
	v_pk_add_f32 v[6:7], v[6:7], v[86:87] op_sel:[0,1] op_sel_hi:[1,0] neg_lo:[0,1] neg_hi:[0,1]
	v_pk_add_f32 v[64:65], v[64:65], v[86:87] op_sel:[0,1] op_sel_hi:[1,0]
	v_pk_add_f32 v[86:87], v[26:27], v[82:83] neg_lo:[0,1] neg_hi:[0,1]
	v_pk_add_f32 v[92:93], v[26:27], v[96:97] neg_lo:[0,1] neg_hi:[0,1]
	v_pk_add_f32 v[86:87], v[86:87], v[90:91]
	v_pk_add_f32 v[90:91], v[82:83], v[88:89]
	v_pk_mul_f32 v[100:101], v[92:93], s[8:9] op_sel_hi:[1,0]
	v_pk_fma_f32 v[90:91], v[90:91], 0.5, v[98:99] op_sel_hi:[1,0,1] neg_lo:[1,0,0] neg_hi:[1,0,0]
	v_mov_b32_e32 v110, v64
	v_pk_add_f32 v[102:103], v[90:91], v[100:101] op_sel:[0,1] op_sel_hi:[1,0]
	v_pk_add_f32 v[90:91], v[90:91], v[100:101] op_sel:[0,1] op_sel_hi:[1,0] neg_lo:[0,1] neg_hi:[0,1]
	v_pk_add_f32 v[100:101], v[82:83], v[88:89] neg_lo:[0,1] neg_hi:[0,1]
	v_mov_b32_e32 v111, v7
	v_pk_mul_f32 v[104:105], v[100:101], s[2:3] op_sel_hi:[1,0]
	v_pk_fma_f32 v[110:111], v[4:5], s[6:7], v[110:111] op_sel_hi:[1,0,1]
	v_pk_add_f32 v[90:91], v[90:91], v[104:105] op_sel:[0,1] op_sel_hi:[1,0] neg_lo:[0,1] neg_hi:[0,1]
	v_pk_add_f32 v[102:103], v[102:103], v[104:105] op_sel:[0,1] op_sel_hi:[1,0]
	v_mov_b32_e32 v105, v91
	v_mov_b32_e32 v104, v102
	v_pk_fma_f32 v[104:105], v[86:87], s[6:7], v[104:105] op_sel_hi:[1,0,1]
	s_nop 0
	v_pk_mul_f32 v[106:107], v[104:105], s[2:3] op_sel_hi:[1,0]
	s_barrier
	v_pk_fma_f32 v[108:109], v[104:105], s[12:13], v[106:107] op_sel:[0,0,1] op_sel_hi:[1,0,0]
	v_pk_fma_f32 v[104:105], v[104:105], s[12:13], v[106:107] op_sel:[0,0,1] op_sel_hi:[1,0,0] neg_lo:[0,0,1] neg_hi:[0,0,1]
	v_pk_add_f32 v[106:107], v[98:99], v[26:27]
	v_mov_b32_e32 v109, v105
	v_pk_add_f32 v[104:105], v[2:3], v[24:25]
	v_pk_add_f32 v[106:107], v[106:107], v[82:83]
	;; [unrolled: 1-line block ×9, first 2 shown]
	ds_write2_b64 v43, v[112:113], v[114:115] offset1:10
	v_pk_add_f32 v[112:113], v[24:25], v[94:95]
	v_pk_add_f32 v[24:25], v[72:73], v[24:25] neg_lo:[0,1] neg_hi:[0,1]
	v_pk_add_f32 v[72:73], v[84:85], v[94:95] neg_lo:[0,1] neg_hi:[0,1]
	v_pk_fma_f32 v[2:3], v[112:113], 0.5, v[2:3] op_sel_hi:[1,0,1] neg_lo:[1,0,0] neg_hi:[1,0,0]
	v_pk_add_f32 v[24:25], v[24:25], v[72:73]
	v_pk_add_f32 v[72:73], v[26:27], v[96:97]
	v_pk_add_f32 v[26:27], v[82:83], v[26:27] neg_lo:[0,1] neg_hi:[0,1]
	v_pk_add_f32 v[82:83], v[88:89], v[96:97] neg_lo:[0,1] neg_hi:[0,1]
	v_pk_mul_f32 v[18:19], v[18:19], s[8:9] op_sel_hi:[1,0]
	v_pk_fma_f32 v[72:73], v[72:73], 0.5, v[98:99] op_sel_hi:[1,0,1] neg_lo:[1,0,0] neg_hi:[1,0,0]
	v_pk_add_f32 v[26:27], v[26:27], v[82:83]
	v_pk_add_f32 v[82:83], v[2:3], v[18:19] op_sel:[0,1] op_sel_hi:[1,0] neg_lo:[0,1] neg_hi:[0,1]
	v_pk_add_f32 v[2:3], v[2:3], v[18:19] op_sel:[0,1] op_sel_hi:[1,0]
	v_pk_mul_f32 v[16:17], v[16:17], s[2:3] op_sel_hi:[1,0]
	v_pk_mul_f32 v[18:19], v[100:101], s[8:9] op_sel_hi:[1,0]
	v_pk_add_f32 v[2:3], v[2:3], v[16:17] op_sel:[0,1] op_sel_hi:[1,0] neg_lo:[0,1] neg_hi:[0,1]
	v_pk_add_f32 v[16:17], v[82:83], v[16:17] op_sel:[0,1] op_sel_hi:[1,0]
	v_pk_add_f32 v[82:83], v[72:73], v[18:19] op_sel:[0,1] op_sel_hi:[1,0] neg_lo:[0,1] neg_hi:[0,1]
	v_pk_add_f32 v[18:19], v[72:73], v[18:19] op_sel:[0,1] op_sel_hi:[1,0]
	v_pk_mul_f32 v[72:73], v[92:93], s[2:3] op_sel_hi:[1,0]
	v_mov_b32_e32 v7, v65
	v_pk_add_f32 v[18:19], v[18:19], v[72:73] op_sel:[0,1] op_sel_hi:[1,0] neg_lo:[0,1] neg_hi:[0,1]
	v_pk_add_f32 v[72:73], v[82:83], v[72:73] op_sel:[0,1] op_sel_hi:[1,0]
	v_mov_b32_e32 v83, v19
	v_mov_b32_e32 v82, v72
	v_pk_fma_f32 v[82:83], v[26:27], s[6:7], v[82:83] op_sel_hi:[1,0,1]
	v_mov_b32_e32 v19, v73
	v_pk_mul_f32 v[84:85], v[82:83], s[8:9] op_sel_hi:[1,0]
	v_pk_fma_f32 v[18:19], v[26:27], s[6:7], v[18:19] op_sel_hi:[1,0,1]
	v_pk_fma_f32 v[88:89], v[82:83], s[6:7], v[84:85] op_sel:[0,0,1] op_sel_hi:[1,0,0]
	v_pk_fma_f32 v[82:83], v[82:83], s[6:7], v[84:85] op_sel:[0,0,1] op_sel_hi:[1,0,0] neg_lo:[0,0,1] neg_hi:[0,0,1]
	v_mov_b32_e32 v91, v103
	v_mov_b32_e32 v89, v83
	;; [unrolled: 1-line block ×5, first 2 shown]
	v_pk_fma_f32 v[16:17], v[24:25], s[6:7], v[82:83] op_sel_hi:[1,0,1]
	v_pk_fma_f32 v[2:3], v[24:25], s[6:7], v[2:3] op_sel_hi:[1,0,1]
	v_pk_mul_f32 v[24:25], v[18:19], s[6:7] op_sel_hi:[1,0]
	v_pk_fma_f32 v[4:5], v[4:5], s[6:7], v[6:7] op_sel_hi:[1,0,1]
	v_pk_fma_f32 v[18:19], v[18:19], s[14:15], v[24:25] op_sel:[0,0,1] op_sel_hi:[1,1,0] neg_lo:[0,0,1] neg_hi:[0,0,1]
	v_pk_add_f32 v[24:25], v[16:17], v[88:89]
	v_pk_add_f32 v[26:27], v[2:3], v[18:19] op_sel:[0,1] op_sel_hi:[1,0]
	v_pk_fma_f32 v[6:7], v[86:87], s[6:7], v[90:91] op_sel_hi:[1,0,1]
	ds_write2_b64 v43, v[24:25], v[26:27] offset0:20 offset1:30
	v_pk_mul_f32 v[24:25], v[6:7], s[12:13] op_sel_hi:[1,0]
	v_pk_add_f32 v[16:17], v[16:17], v[88:89] neg_lo:[0,1] neg_hi:[0,1]
	v_pk_fma_f32 v[6:7], v[6:7], s[16:17], v[24:25] op_sel:[0,0,1] op_sel_hi:[1,1,0] neg_lo:[0,0,1] neg_hi:[0,0,1]
	v_pk_add_f32 v[24:25], v[104:105], v[106:107] neg_lo:[0,1] neg_hi:[0,1]
	v_pk_add_f32 v[26:27], v[4:5], v[6:7] op_sel:[0,1] op_sel_hi:[1,0]
	ds_write2_b64 v43, v[26:27], v[24:25] offset0:40 offset1:50
	v_pk_add_f32 v[24:25], v[110:111], v[108:109] neg_lo:[0,1] neg_hi:[0,1]
	v_pk_add_f32 v[2:3], v[2:3], v[18:19] op_sel:[0,1] op_sel_hi:[1,0] neg_lo:[0,1] neg_hi:[0,1]
	v_pk_add_f32 v[4:5], v[4:5], v[6:7] op_sel:[0,1] op_sel_hi:[1,0] neg_lo:[0,1] neg_hi:[0,1]
	v_mad_u64_u32 v[72:73], s[10:11], v53, s7, v[0:1]
	ds_write2_b64 v43, v[24:25], v[16:17] offset0:60 offset1:70
	ds_write2_b64 v43, v[2:3], v[4:5] offset0:80 offset1:90
	s_waitcnt lgkmcnt(0)
	s_barrier
	global_load_dwordx4 v[0:3], v[72:73], off offset:720
	global_load_dwordx4 v[4:7], v[72:73], off offset:736
	global_load_dwordx4 v[16:19], v[72:73], off offset:752
	global_load_dwordx4 v[24:27], v[72:73], off offset:768
	global_load_dwordx2 v[64:65], v[72:73], off offset:784
	ds_read2_b64 v[82:85], v69 offset0:72 offset1:172
	ds_read2_b64 v[86:89], v67 offset0:144 offset1:244
	s_mov_b64 s[10:11], 0x1f40
	s_waitcnt vmcnt(4)
	v_mov_b32_e32 v60, v3
	s_waitcnt lgkmcnt(1)
	v_pk_mul_f32 v[72:73], v[82:83], v[60:61] op_sel_hi:[1,0]
	s_waitcnt vmcnt(3)
	v_mov_b32_e32 v62, v7
	v_pk_fma_f32 v[90:91], v[82:83], v[2:3], v[72:73] op_sel:[0,0,1] op_sel_hi:[1,1,0] neg_lo:[0,0,1] neg_hi:[0,0,1]
	v_pk_fma_f32 v[72:73], v[82:83], v[2:3], v[72:73] op_sel:[0,0,1] op_sel_hi:[1,0,0]
	v_pk_mul_f32 v[82:83], v[84:85], v[4:5] op_sel:[0,1]
	s_waitcnt vmcnt(2)
	v_mov_b32_e32 v66, v19
	v_pk_fma_f32 v[92:93], v[84:85], v[4:5], v[82:83] op_sel:[0,0,1] op_sel_hi:[1,1,0] neg_lo:[0,0,1] neg_hi:[0,0,1]
	v_pk_fma_f32 v[94:95], v[84:85], v[4:5], v[82:83] op_sel:[0,0,1] op_sel_hi:[1,0,0]
	s_waitcnt lgkmcnt(0)
	v_pk_mul_f32 v[82:83], v[86:87], v[62:63] op_sel_hi:[1,0]
	s_waitcnt vmcnt(1)
	v_mov_b32_e32 v72, v27
	v_pk_fma_f32 v[96:97], v[86:87], v[6:7], v[82:83] op_sel:[0,0,1] op_sel_hi:[1,1,0] neg_lo:[0,0,1] neg_hi:[0,0,1]
	v_pk_fma_f32 v[98:99], v[86:87], v[6:7], v[82:83] op_sel:[0,0,1] op_sel_hi:[1,0,0]
	ds_read2_b64 v[82:85], v63 offset0:88 offset1:188
	v_pk_mul_f32 v[86:87], v[88:89], v[16:17] op_sel:[0,1]
	v_mov_b32_e32 v91, v73
	v_pk_fma_f32 v[100:101], v[88:89], v[16:17], v[86:87] op_sel:[0,0,1] op_sel_hi:[1,1,0] neg_lo:[0,0,1] neg_hi:[0,0,1]
	v_pk_fma_f32 v[102:103], v[88:89], v[16:17], v[86:87] op_sel:[0,0,1] op_sel_hi:[1,0,0]
	s_waitcnt lgkmcnt(0)
	v_pk_mul_f32 v[86:87], v[82:83], v[66:67] op_sel_hi:[1,0]
	v_mov_b32_e32 v97, v99
	v_pk_fma_f32 v[104:105], v[82:83], v[18:19], v[86:87] op_sel:[0,0,1] op_sel_hi:[1,1,0] neg_lo:[0,0,1] neg_hi:[0,0,1]
	v_pk_fma_f32 v[106:107], v[82:83], v[18:19], v[86:87] op_sel:[0,0,1] op_sel_hi:[1,0,0]
	ds_read2_b64 v[86:89], v61 offset0:32 offset1:132
	v_pk_mul_f32 v[82:83], v[84:85], v[24:25] op_sel:[0,1]
	v_mov_b32_e32 v105, v107
	v_pk_fma_f32 v[108:109], v[84:85], v[24:25], v[82:83] op_sel:[0,0,1] op_sel_hi:[1,1,0] neg_lo:[0,0,1] neg_hi:[0,0,1]
	v_pk_fma_f32 v[110:111], v[84:85], v[24:25], v[82:83] op_sel:[0,0,1] op_sel_hi:[1,0,0]
	s_waitcnt lgkmcnt(0)
	v_pk_mul_f32 v[82:83], v[86:87], v[72:73] op_sel_hi:[1,0]
	v_mov_b32_e32 v93, v95
	v_pk_fma_f32 v[112:113], v[86:87], v[26:27], v[82:83] op_sel:[0,0,1] op_sel_hi:[1,1,0] neg_lo:[0,0,1] neg_hi:[0,0,1]
	v_pk_fma_f32 v[86:87], v[86:87], v[26:27], v[82:83] op_sel:[0,0,1] op_sel_hi:[1,0,0]
	s_waitcnt vmcnt(0)
	v_pk_mul_f32 v[82:83], v[88:89], v[64:65] op_sel:[0,1]
	v_mov_b32_e32 v113, v87
	v_pk_fma_f32 v[114:115], v[88:89], v[64:65], v[82:83] op_sel:[0,0,1] op_sel_hi:[1,1,0] neg_lo:[0,0,1] neg_hi:[0,0,1]
	v_pk_fma_f32 v[88:89], v[88:89], v[64:65], v[82:83] op_sel:[0,0,1] op_sel_hi:[1,0,0]
	ds_read2_b64 v[82:85], v38 offset1:100
	v_pk_add_f32 v[86:87], v[112:113], v[104:105] neg_lo:[0,1] neg_hi:[0,1]
	v_mov_b32_e32 v115, v89
	v_pk_add_f32 v[88:89], v[90:91], v[112:113] neg_lo:[0,1] neg_hi:[0,1]
	v_mov_b32_e32 v101, v103
	s_waitcnt lgkmcnt(0)
	v_pk_mul_f32 v[116:117], v[84:85], v[0:1] op_sel:[0,1]
	v_pk_mul_f32 v[94:95], v[88:89], s[8:9] op_sel_hi:[1,0]
	v_pk_fma_f32 v[118:119], v[84:85], v[0:1], v[116:117] op_sel:[0,0,1] op_sel_hi:[1,1,0] neg_lo:[0,0,1] neg_hi:[0,0,1]
	v_pk_fma_f32 v[84:85], v[84:85], v[0:1], v[116:117] op_sel:[0,0,1] op_sel_hi:[1,0,0]
	v_mov_b32_e32 v109, v111
	v_mov_b32_e32 v119, v85
	v_pk_add_f32 v[84:85], v[90:91], v[96:97] neg_lo:[0,1] neg_hi:[0,1]
	v_pk_add_f32 v[106:107], v[114:115], v[108:109] neg_lo:[0,1] neg_hi:[0,1]
	v_pk_add_f32 v[84:85], v[84:85], v[86:87]
	v_pk_add_f32 v[86:87], v[96:97], v[104:105]
	v_pk_add_f32 v[110:111], v[92:93], v[114:115] neg_lo:[0,1] neg_hi:[0,1]
	v_pk_fma_f32 v[86:87], v[86:87], 0.5, v[82:83] op_sel_hi:[1,0,1] neg_lo:[1,0,0] neg_hi:[1,0,0]
	v_pk_mul_f32 v[116:117], v[110:111], s[8:9] op_sel_hi:[1,0]
	v_pk_add_f32 v[98:99], v[86:87], v[94:95] op_sel:[0,1] op_sel_hi:[1,0]
	v_pk_add_f32 v[86:87], v[86:87], v[94:95] op_sel:[0,1] op_sel_hi:[1,0] neg_lo:[0,1] neg_hi:[0,1]
	v_pk_add_f32 v[94:95], v[96:97], v[104:105] neg_lo:[0,1] neg_hi:[0,1]
	v_pk_mul_f32 v[88:89], v[88:89], s[2:3] op_sel_hi:[1,0]
	v_pk_mul_f32 v[102:103], v[94:95], s[2:3] op_sel_hi:[1,0]
	;; [unrolled: 1-line block ×3, first 2 shown]
	v_pk_add_f32 v[86:87], v[86:87], v[102:103] op_sel:[0,1] op_sel_hi:[1,0] neg_lo:[0,1] neg_hi:[0,1]
	v_pk_add_f32 v[98:99], v[98:99], v[102:103] op_sel:[0,1] op_sel_hi:[1,0]
	v_pk_add_f32 v[102:103], v[92:93], v[100:101] neg_lo:[0,1] neg_hi:[0,1]
	v_mov_b32_e32 v128, v98
	v_pk_add_f32 v[102:103], v[102:103], v[106:107]
	v_pk_add_f32 v[106:107], v[100:101], v[108:109]
	v_mov_b32_e32 v129, v87
	v_pk_fma_f32 v[106:107], v[106:107], 0.5, v[118:119] op_sel_hi:[1,0,1] neg_lo:[1,0,0] neg_hi:[1,0,0]
	v_pk_fma_f32 v[128:129], v[84:85], s[6:7], v[128:129] op_sel_hi:[1,0,1]
	v_pk_add_f32 v[120:121], v[106:107], v[116:117] op_sel:[0,1] op_sel_hi:[1,0]
	v_pk_add_f32 v[106:107], v[106:107], v[116:117] op_sel:[0,1] op_sel_hi:[1,0] neg_lo:[0,1] neg_hi:[0,1]
	v_pk_add_f32 v[116:117], v[100:101], v[108:109] neg_lo:[0,1] neg_hi:[0,1]
	v_mov_b32_e32 v87, v99
	v_pk_mul_f32 v[122:123], v[116:117], s[2:3] op_sel_hi:[1,0]
	v_pk_fma_f32 v[84:85], v[84:85], s[6:7], v[86:87] op_sel_hi:[1,0,1]
	v_pk_add_f32 v[106:107], v[106:107], v[122:123] op_sel:[0,1] op_sel_hi:[1,0] neg_lo:[0,1] neg_hi:[0,1]
	v_pk_add_f32 v[120:121], v[120:121], v[122:123] op_sel:[0,1] op_sel_hi:[1,0]
	v_mov_b32_e32 v123, v107
	v_mov_b32_e32 v122, v120
	v_pk_fma_f32 v[122:123], v[102:103], s[6:7], v[122:123] op_sel_hi:[1,0,1]
	v_mov_b32_e32 v107, v121
	v_pk_mul_f32 v[124:125], v[122:123], s[2:3] op_sel_hi:[1,0]
	v_pk_fma_f32 v[86:87], v[102:103], s[6:7], v[106:107] op_sel_hi:[1,0,1]
	v_pk_fma_f32 v[126:127], v[122:123], s[12:13], v[124:125] op_sel:[0,0,1] op_sel_hi:[1,0,0]
	v_pk_fma_f32 v[122:123], v[122:123], s[12:13], v[124:125] op_sel:[0,0,1] op_sel_hi:[1,0,0] neg_lo:[0,0,1] neg_hi:[0,0,1]
	v_pk_add_f32 v[124:125], v[118:119], v[92:93]
	v_mov_b32_e32 v127, v123
	v_pk_add_f32 v[122:123], v[82:83], v[90:91]
	v_pk_add_f32 v[124:125], v[124:125], v[100:101]
	;; [unrolled: 1-line block ×9, first 2 shown]
	ds_write2_b64 v38, v[130:131], v[132:133] offset1:100
	v_pk_add_f32 v[130:131], v[90:91], v[112:113]
	v_pk_add_f32 v[90:91], v[96:97], v[90:91] neg_lo:[0,1] neg_hi:[0,1]
	v_pk_add_f32 v[96:97], v[104:105], v[112:113] neg_lo:[0,1] neg_hi:[0,1]
	v_pk_fma_f32 v[82:83], v[130:131], 0.5, v[82:83] op_sel_hi:[1,0,1] neg_lo:[1,0,0] neg_hi:[1,0,0]
	v_pk_add_f32 v[90:91], v[90:91], v[96:97]
	v_pk_add_f32 v[96:97], v[92:93], v[114:115]
	v_pk_add_f32 v[92:93], v[100:101], v[92:93] neg_lo:[0,1] neg_hi:[0,1]
	v_pk_add_f32 v[100:101], v[108:109], v[114:115] neg_lo:[0,1] neg_hi:[0,1]
	v_pk_fma_f32 v[96:97], v[96:97], 0.5, v[118:119] op_sel_hi:[1,0,1] neg_lo:[1,0,0] neg_hi:[1,0,0]
	v_pk_add_f32 v[92:93], v[92:93], v[100:101]
	v_pk_add_f32 v[100:101], v[82:83], v[94:95] op_sel:[0,1] op_sel_hi:[1,0] neg_lo:[0,1] neg_hi:[0,1]
	v_pk_add_f32 v[82:83], v[82:83], v[94:95] op_sel:[0,1] op_sel_hi:[1,0]
	v_pk_mul_f32 v[94:95], v[116:117], s[8:9] op_sel_hi:[1,0]
	v_pk_add_f32 v[82:83], v[82:83], v[88:89] op_sel:[0,1] op_sel_hi:[1,0] neg_lo:[0,1] neg_hi:[0,1]
	v_pk_add_f32 v[88:89], v[100:101], v[88:89] op_sel:[0,1] op_sel_hi:[1,0]
	v_pk_add_f32 v[100:101], v[96:97], v[94:95] op_sel:[0,1] op_sel_hi:[1,0] neg_lo:[0,1] neg_hi:[0,1]
	v_pk_add_f32 v[94:95], v[96:97], v[94:95] op_sel:[0,1] op_sel_hi:[1,0]
	v_pk_mul_f32 v[96:97], v[110:111], s[2:3] op_sel_hi:[1,0]
	s_nop 0
	v_pk_add_f32 v[94:95], v[94:95], v[96:97] op_sel:[0,1] op_sel_hi:[1,0] neg_lo:[0,1] neg_hi:[0,1]
	v_pk_add_f32 v[96:97], v[100:101], v[96:97] op_sel:[0,1] op_sel_hi:[1,0]
	v_mov_b32_e32 v101, v95
	v_mov_b32_e32 v100, v96
	v_pk_fma_f32 v[100:101], v[92:93], s[6:7], v[100:101] op_sel_hi:[1,0,1]
	v_mov_b32_e32 v95, v97
	v_pk_mul_f32 v[104:105], v[100:101], s[8:9] op_sel_hi:[1,0]
	s_nop 0
	v_pk_fma_f32 v[108:109], v[100:101], s[6:7], v[104:105] op_sel:[0,0,1] op_sel_hi:[1,0,0]
	v_pk_fma_f32 v[100:101], v[100:101], s[6:7], v[104:105] op_sel:[0,0,1] op_sel_hi:[1,0,0] neg_lo:[0,0,1] neg_hi:[0,0,1]
	s_nop 0
	v_mov_b32_e32 v109, v101
	v_mov_b32_e32 v100, v88
	;; [unrolled: 1-line block ×4, first 2 shown]
	v_pk_fma_f32 v[88:89], v[90:91], s[6:7], v[100:101] op_sel_hi:[1,0,1]
	v_pk_fma_f32 v[82:83], v[90:91], s[6:7], v[82:83] op_sel_hi:[1,0,1]
	;; [unrolled: 1-line block ×3, first 2 shown]
	s_nop 0
	v_pk_mul_f32 v[92:93], v[90:91], s[6:7] op_sel_hi:[1,0]
	s_movk_i32 s7, 0x3000
	v_pk_fma_f32 v[90:91], v[90:91], s[14:15], v[92:93] op_sel:[0,0,1] op_sel_hi:[1,1,0] neg_lo:[0,0,1] neg_hi:[0,0,1]
	v_pk_add_f32 v[92:93], v[88:89], v[108:109]
	v_pk_add_f32 v[94:95], v[82:83], v[90:91] op_sel:[0,1] op_sel_hi:[1,0]
	ds_write2_b64 v69, v[92:93], v[94:95] offset0:72 offset1:172
	v_pk_mul_f32 v[92:93], v[86:87], s[12:13] op_sel_hi:[1,0]
	v_pk_add_f32 v[88:89], v[88:89], v[108:109] neg_lo:[0,1] neg_hi:[0,1]
	v_pk_fma_f32 v[86:87], v[86:87], s[16:17], v[92:93] op_sel:[0,0,1] op_sel_hi:[1,1,0] neg_lo:[0,0,1] neg_hi:[0,0,1]
	v_pk_add_f32 v[92:93], v[122:123], v[124:125] neg_lo:[0,1] neg_hi:[0,1]
	v_pk_add_f32 v[94:95], v[84:85], v[86:87] op_sel:[0,1] op_sel_hi:[1,0]
	ds_write2_b64 v67, v[94:95], v[92:93] offset0:144 offset1:244
	v_pk_add_f32 v[92:93], v[128:129], v[126:127] neg_lo:[0,1] neg_hi:[0,1]
	v_pk_add_f32 v[82:83], v[82:83], v[90:91] op_sel:[0,1] op_sel_hi:[1,0] neg_lo:[0,1] neg_hi:[0,1]
	v_pk_add_f32 v[84:85], v[84:85], v[86:87] op_sel:[0,1] op_sel_hi:[1,0] neg_lo:[0,1] neg_hi:[0,1]
	ds_write2_b64 v63, v[92:93], v[88:89] offset0:88 offset1:188
	ds_write2_b64 v61, v[82:83], v[84:85] offset0:32 offset1:132
	s_waitcnt lgkmcnt(0)
	s_barrier
	global_load_dwordx2 v[84:85], v[80:81], off offset:3904
	v_lshl_add_u64 v[80:81], v[58:59], 0, s[10:11]
	global_load_dwordx2 v[86:87], v[80:81], off offset:800
	global_load_dwordx2 v[88:89], v[80:81], off offset:1600
	;; [unrolled: 1-line block ×5, first 2 shown]
	v_add_co_u32_e32 v58, vcc, s7, v58
	s_mov_b32 s14, s6
	s_nop 0
	v_addc_co_u32_e32 v59, vcc, 0, v59, vcc
	global_load_dwordx2 v[96:97], v[58:59], off offset:512
	global_load_dwordx2 v[98:99], v[58:59], off offset:1312
	;; [unrolled: 1-line block ×4, first 2 shown]
	ds_read2_b64 v[80:83], v38 offset1:100
	s_mov_b32 s10, 0xbe9e377a
	s_mov_b32 s11, s8
	;; [unrolled: 1-line block ×3, first 2 shown]
	s_waitcnt vmcnt(8) lgkmcnt(0)
	v_mul_f32_e32 v73, v83, v87
	v_mul_f32_e32 v59, v80, v85
	;; [unrolled: 1-line block ×3, first 2 shown]
	v_fmac_f32_e32 v59, v81, v84
	v_mul_f32_e32 v81, v82, v87
	v_fma_f32 v58, v80, v84, -v58
	v_fma_f32 v80, v82, v86, -v73
	v_fmac_f32_e32 v81, v83, v86
	ds_write2_b64 v38, v[58:59], v[80:81] offset1:100
	ds_read2_b64 v[80:83], v69 offset0:72 offset1:172
	ds_read2_b64 v[84:87], v67 offset0:144 offset1:244
	s_waitcnt vmcnt(7) lgkmcnt(1)
	v_mul_f32_e32 v58, v81, v89
	v_mul_f32_e32 v59, v80, v89
	s_waitcnt vmcnt(6)
	v_mul_f32_e32 v73, v83, v91
	v_mul_f32_e32 v89, v82, v91
	v_fma_f32 v58, v80, v88, -v58
	v_fmac_f32_e32 v59, v81, v88
	v_fma_f32 v88, v82, v90, -v73
	v_fmac_f32_e32 v89, v83, v90
	s_waitcnt vmcnt(5) lgkmcnt(0)
	v_mul_f32_e32 v73, v85, v93
	ds_read2_b64 v[80:83], v63 offset0:88 offset1:188
	v_fma_f32 v90, v84, v92, -v73
	v_mul_f32_e32 v91, v84, v93
	s_waitcnt vmcnt(4)
	v_mul_f32_e32 v73, v87, v95
	v_mul_f32_e32 v93, v86, v95
	v_fmac_f32_e32 v91, v85, v92
	v_fma_f32 v92, v86, v94, -v73
	v_fmac_f32_e32 v93, v87, v94
	ds_read2_b64 v[84:87], v61 offset0:32 offset1:132
	s_waitcnt vmcnt(3) lgkmcnt(1)
	v_mul_f32_e32 v73, v81, v97
	v_mul_f32_e32 v95, v80, v97
	v_fma_f32 v94, v80, v96, -v73
	v_fmac_f32_e32 v95, v81, v96
	s_waitcnt vmcnt(2)
	v_mul_f32_e32 v73, v83, v99
	v_mul_f32_e32 v81, v82, v99
	v_fma_f32 v80, v82, v98, -v73
	v_fmac_f32_e32 v81, v83, v98
	s_waitcnt vmcnt(1) lgkmcnt(0)
	v_mul_f32_e32 v73, v85, v101
	v_mul_f32_e32 v83, v84, v101
	v_fma_f32 v82, v84, v100, -v73
	v_fmac_f32_e32 v83, v85, v100
	s_waitcnt vmcnt(0)
	v_mul_f32_e32 v73, v87, v103
	v_mul_f32_e32 v85, v86, v103
	v_fma_f32 v84, v86, v102, -v73
	v_fmac_f32_e32 v85, v87, v102
	ds_write2_b64 v69, v[58:59], v[88:89] offset0:72 offset1:172
	ds_write2_b64 v67, v[90:91], v[92:93] offset0:144 offset1:244
	;; [unrolled: 1-line block ×4, first 2 shown]
	s_waitcnt lgkmcnt(0)
	s_barrier
	ds_read2_b64 v[80:83], v38 offset1:100
	ds_read2_b64 v[84:87], v69 offset0:72 offset1:172
	ds_read2_b64 v[88:91], v67 offset0:144 offset1:244
	;; [unrolled: 1-line block ×3, first 2 shown]
	s_waitcnt lgkmcnt(2)
	v_pk_add_f32 v[58:59], v[80:81], v[84:85]
	v_pk_add_f32 v[96:97], v[82:83], v[86:87]
	s_waitcnt lgkmcnt(1)
	v_pk_add_f32 v[58:59], v[58:59], v[88:89]
	v_pk_add_f32 v[96:97], v[96:97], v[90:91]
	v_mov_b32_e32 v98, v90
	v_mov_b32_e32 v100, v91
	s_waitcnt lgkmcnt(0)
	v_pk_add_f32 v[102:103], v[88:89], v[92:93]
	v_pk_add_f32 v[104:105], v[88:89], v[92:93] neg_lo:[0,1] neg_hi:[0,1]
	v_pk_add_f32 v[106:107], v[84:85], v[88:89] neg_lo:[0,1] neg_hi:[0,1]
	v_pk_add_f32 v[108:109], v[90:91], v[94:95]
	v_pk_add_f32 v[110:111], v[90:91], v[94:95] neg_lo:[0,1] neg_hi:[0,1]
	v_pk_add_f32 v[112:113], v[86:87], v[90:91] neg_lo:[0,1] neg_hi:[0,1]
	;; [unrolled: 1-line block ×3, first 2 shown]
	ds_read2_b64 v[88:91], v61 offset0:32 offset1:132
	v_mov_b32_e32 v118, v86
	v_mov_b32_e32 v120, v87
	v_pk_add_f32 v[58:59], v[58:59], v[92:93]
	v_mov_b32_e32 v99, v94
	s_waitcnt lgkmcnt(0)
	v_pk_add_f32 v[116:117], v[86:87], v[90:91]
	v_pk_add_f32 v[122:123], v[84:85], v[88:89] neg_lo:[0,1] neg_hi:[0,1]
	v_pk_add_f32 v[124:125], v[86:87], v[90:91] neg_lo:[0,1] neg_hi:[0,1]
	v_pk_add_f32 v[126:127], v[84:85], v[88:89]
	v_pk_add_f32 v[84:85], v[96:97], v[94:95]
	v_pk_add_f32 v[86:87], v[88:89], v[92:93] neg_lo:[0,1] neg_hi:[0,1]
	v_mov_b32_e32 v101, v95
	v_pk_add_f32 v[94:95], v[90:91], v[94:95] neg_lo:[0,1] neg_hi:[0,1]
	v_pk_add_f32 v[92:93], v[92:93], v[88:89] neg_lo:[0,1] neg_hi:[0,1]
	v_pk_add_f32 v[58:59], v[58:59], v[88:89]
	v_mov_b32_e32 v119, v90
	v_pk_add_f32 v[88:89], v[84:85], v[90:91]
	v_mov_b32_e32 v121, v91
	v_pk_add_f32 v[90:91], v[106:107], v[86:87]
	v_pk_fma_f32 v[84:85], v[102:103], 0.5, v[80:81] op_sel_hi:[1,0,1] neg_lo:[1,0,0] neg_hi:[1,0,0]
	v_pk_mul_f32 v[86:87], v[122:123], s[8:9] op_sel_hi:[1,0]
	v_pk_add_f32 v[94:95], v[112:113], v[94:95]
	v_pk_add_f32 v[96:97], v[84:85], v[86:87] op_sel:[0,1] op_sel_hi:[1,0] neg_lo:[0,1] neg_hi:[0,1]
	v_pk_add_f32 v[84:85], v[84:85], v[86:87] op_sel:[0,1] op_sel_hi:[1,0]
	v_pk_mul_f32 v[86:87], v[104:105], s[2:3] op_sel_hi:[1,0]
	v_fma_f32 v73, -0.5, v116, v82
	v_pk_add_f32 v[102:103], v[84:85], v[86:87] op_sel:[0,1] op_sel_hi:[1,0]
	v_pk_add_f32 v[96:97], v[96:97], v[86:87] op_sel:[0,1] op_sel_hi:[1,0] neg_lo:[0,1] neg_hi:[0,1]
	v_pk_fma_f32 v[84:85], v[108:109], 0.5, v[82:83] op_sel_hi:[1,0,1] neg_lo:[1,0,0] neg_hi:[1,0,0]
	v_pk_mul_f32 v[86:87], v[124:125], s[8:9] op_sel_hi:[1,0]
	v_fma_f32 v77, -0.5, v117, v83
	v_pk_add_f32 v[106:107], v[84:85], v[86:87] op_sel:[0,1] op_sel_hi:[1,0]
	v_pk_add_f32 v[84:85], v[84:85], v[86:87] op_sel:[0,1] op_sel_hi:[1,0] neg_lo:[0,1] neg_hi:[0,1]
	v_pk_mul_f32 v[86:87], v[110:111], s[2:3] op_sel_hi:[1,0]
	v_pk_add_f32 v[82:83], v[98:99], v[118:119] neg_lo:[0,1] neg_hi:[0,1]
	v_pk_add_f32 v[106:107], v[86:87], v[106:107] op_sel:[1,0] op_sel_hi:[0,1]
	v_pk_add_f32 v[108:109], v[84:85], v[86:87] op_sel:[0,1] op_sel_hi:[1,0] neg_lo:[0,1] neg_hi:[0,1]
	v_mov_b32_e32 v84, v96
	v_mov_b32_e32 v85, v103
	v_pk_fma_f32 v[112:113], v[90:91], s[6:7], v[84:85] op_sel_hi:[1,0,1]
	v_pk_fma_f32 v[128:129], v[94:95], s[6:7], v[106:107] op_sel_hi:[1,0,1]
	s_mov_b32 s7, s2
	v_mov_b32_e32 v106, v108
	v_pk_fma_f32 v[84:85], v[94:95], s[6:7], v[106:107] op_sel_hi:[1,0,1]
	s_nop 0
	v_pk_mul_f32 v[86:87], v[84:85], s[2:3] op_sel_hi:[1,0]
	s_barrier
	v_pk_fma_f32 v[106:107], v[84:85], s[12:13], v[86:87] op_sel:[0,0,1] op_sel_hi:[1,0,0] neg_lo:[0,0,1] neg_hi:[0,0,1]
	v_pk_fma_f32 v[84:85], v[84:85], s[12:13], v[86:87] op_sel:[0,0,1] op_sel_hi:[1,0,0]
	s_nop 0
	v_mov_b32_e32 v107, v85
	v_pk_add_f32 v[84:85], v[58:59], v[88:89]
	v_pk_add_f32 v[86:87], v[112:113], v[106:107]
	ds_write_b128 v71, v[84:87]
	v_mov_b32_e32 v84, v83
	v_pk_add_f32 v[82:83], v[82:83], v[84:85]
	v_pk_add_f32 v[84:85], v[100:101], v[120:121] neg_lo:[0,1] neg_hi:[0,1]
	v_mov_b32_e32 v83, v125
	v_mov_b32_e32 v86, v85
	v_pk_add_f32 v[84:85], v[84:85], v[86:87]
	v_fmamk_f32 v96, v110, 0xbf737871, v77
	v_mov_b32_e32 v85, v124
	v_pk_mul_f32 v[84:85], v[84:85], s[6:7]
	v_pk_fma_f32 v[80:81], v[126:127], 0.5, v[80:81] op_sel_hi:[1,0,1] neg_lo:[1,0,0] neg_hi:[1,0,0]
	v_fmamk_f32 v79, v111, 0x3f737871, v73
	v_fmac_f32_e32 v73, 0xbf737871, v111
	v_pk_add_f32 v[86:87], v[114:115], v[92:93]
	v_pk_mul_f32 v[92:93], v[104:105], s[8:9] op_sel_hi:[1,0]
	v_pk_mul_f32 v[82:83], v[82:83], s[6:7]
	v_add_f32_e32 v96, v85, v96
	v_fmac_f32_e32 v77, 0x3f737871, v110
	v_pk_add_f32 v[98:99], v[80:81], v[92:93] op_sel:[0,1] op_sel_hi:[1,0]
	v_pk_add_f32 v[80:81], v[80:81], v[92:93] op_sel:[0,1] op_sel_hi:[1,0] neg_lo:[0,1] neg_hi:[0,1]
	v_pk_mul_f32 v[92:93], v[122:123], s[2:3] op_sel_hi:[1,0]
	v_sub_f32_e32 v79, v79, v83
	s_mov_b32 s9, s6
	v_add_f32_e32 v96, v84, v96
	v_add_f32_e32 v73, v83, v73
	v_pk_add_f32 v[80:81], v[80:81], v[92:93] op_sel:[0,1] op_sel_hi:[1,0]
	v_pk_add_f32 v[92:93], v[98:99], v[92:93] op_sel:[0,1] op_sel_hi:[1,0] neg_lo:[0,1] neg_hi:[0,1]
	v_pk_mul_f32 v[98:99], v[96:97], s[8:9] op_sel_hi:[0,1]
	v_add_f32_e32 v96, v82, v79
	v_add_f32_e32 v82, v82, v73
	v_sub_f32_e32 v73, v77, v85
	v_add_f32_e32 v84, v84, v73
	v_pk_mul_f32 v[84:85], v[84:85], s[8:9] op_sel_hi:[0,1]
	v_pk_fma_f32 v[100:101], v[96:97], s[14:15], v[98:99] neg_lo:[0,0,1] neg_hi:[0,0,1]
	v_pk_fma_f32 v[98:99], v[96:97], s[14:15], v[98:99] op_sel_hi:[0,1,1]
	v_pk_fma_f32 v[84:85], v[82:83], s[10:11], v[84:85] op_sel_hi:[0,1,1] neg_lo:[0,0,1] neg_hi:[0,0,1]
	v_mov_b32_e32 v82, v92
	v_mov_b32_e32 v83, v81
	;; [unrolled: 1-line block ×4, first 2 shown]
	v_pk_fma_f32 v[92:93], v[86:87], s[6:7], v[82:83] op_sel_hi:[1,0,1]
	v_pk_fma_f32 v[86:87], v[86:87], s[6:7], v[80:81] op_sel_hi:[1,0,1]
	v_pk_add_f32 v[80:81], v[92:93], v[100:101]
	v_pk_add_f32 v[82:83], v[86:87], v[84:85]
	ds_write_b128 v71, v[80:83] offset:16
	v_pk_fma_f32 v[80:81], v[94:95], s[6:7], v[108:109] op_sel_hi:[1,0,1]
	v_mov_b32_e32 v103, v97
	v_pk_mul_f32 v[80:81], v[80:81], s[2:3] op_sel:[1,0]
	v_pk_fma_f32 v[90:91], v[90:91], s[6:7], v[102:103] op_sel_hi:[1,0,1]
	v_pk_fma_f32 v[94:95], v[128:129], s[16:17], v[80:81] op_sel_hi:[0,1,1] neg_lo:[0,0,1] neg_hi:[0,0,1]
	v_pk_add_f32 v[82:83], v[58:59], v[88:89] neg_lo:[0,1] neg_hi:[0,1]
	v_pk_add_f32 v[80:81], v[90:91], v[94:95]
	ds_write_b128 v71, v[80:83] offset:32
	v_pk_add_f32 v[80:81], v[112:113], v[106:107] neg_lo:[0,1] neg_hi:[0,1]
	v_pk_add_f32 v[82:83], v[92:93], v[100:101] neg_lo:[0,1] neg_hi:[0,1]
	ds_write_b128 v71, v[80:83] offset:48
	v_pk_add_f32 v[80:81], v[86:87], v[84:85] neg_lo:[0,1] neg_hi:[0,1]
	v_pk_add_f32 v[82:83], v[90:91], v[94:95] neg_lo:[0,1] neg_hi:[0,1]
	ds_write_b128 v71, v[80:83] offset:64
	s_waitcnt lgkmcnt(0)
	s_barrier
	ds_read2_b64 v[80:83], v61 offset0:32 offset1:132
	ds_read2_b64 v[84:87], v63 offset0:88 offset1:188
	s_waitcnt lgkmcnt(1)
	v_pk_mul_f32 v[58:59], v[74:75], v[82:83] op_sel:[1,0]
	s_nop 0
	v_pk_fma_f32 v[88:89], v[74:75], v[82:83], v[58:59] op_sel:[0,0,1] op_sel_hi:[1,1,0]
	v_pk_fma_f32 v[58:59], v[74:75], v[82:83], v[58:59] op_sel:[0,0,1] op_sel_hi:[0,1,0] neg_lo:[0,0,1] neg_hi:[0,0,1]
	v_pk_mul_f32 v[74:75], v[78:79], v[80:81] op_sel_hi:[0,1]
	v_pk_fma_f32 v[82:83], v[30:31], v[80:81], v[74:75] op_sel:[0,0,1] op_sel_hi:[1,1,0]
	v_pk_fma_f32 v[74:75], v[30:31], v[80:81], v[74:75] op_sel:[0,0,1] op_sel_hi:[0,1,0] neg_lo:[0,0,1] neg_hi:[0,0,1]
	ds_read2_b64 v[78:81], v67 offset0:144 offset1:244
	s_waitcnt lgkmcnt(1)
	v_pk_mul_f32 v[30:31], v[28:29], v[86:87] op_sel:[1,0]
	v_mov_b32_e32 v83, v75
	v_pk_fma_f32 v[90:91], v[28:29], v[86:87], v[30:31] op_sel:[0,0,1] op_sel_hi:[1,1,0]
	v_pk_fma_f32 v[86:87], v[28:29], v[86:87], v[30:31] op_sel:[0,0,1] op_sel_hi:[0,1,0] neg_lo:[0,0,1] neg_hi:[0,0,1]
	v_pk_mul_f32 v[28:29], v[76:77], v[84:85] op_sel_hi:[0,1]
	v_pk_fma_f32 v[76:77], v[22:23], v[84:85], v[28:29] op_sel:[0,0,1] op_sel_hi:[1,1,0]
	v_pk_fma_f32 v[84:85], v[22:23], v[84:85], v[28:29] op_sel:[0,0,1] op_sel_hi:[0,1,0] neg_lo:[0,0,1] neg_hi:[0,0,1]
	s_waitcnt lgkmcnt(0)
	v_pk_mul_f32 v[22:23], v[20:21], v[80:81] op_sel:[1,0]
	ds_read2_b64 v[28:31], v69 offset0:72 offset1:172
	v_pk_fma_f32 v[92:93], v[20:21], v[80:81], v[22:23] op_sel:[0,0,1] op_sel_hi:[1,1,0]
	v_pk_fma_f32 v[80:81], v[20:21], v[80:81], v[22:23] op_sel:[0,0,1] op_sel_hi:[0,1,0] neg_lo:[0,0,1] neg_hi:[0,0,1]
	v_pk_mul_f32 v[20:21], v[70:71], v[78:79] op_sel_hi:[0,1]
	v_pk_fma_f32 v[70:71], v[14:15], v[78:79], v[20:21] op_sel:[0,0,1] op_sel_hi:[1,1,0]
	v_pk_fma_f32 v[14:15], v[14:15], v[78:79], v[20:21] op_sel:[0,0,1] op_sel_hi:[0,1,0] neg_lo:[0,0,1] neg_hi:[0,0,1]
	ds_read2_b64 v[20:23], v38 offset1:100
	s_waitcnt lgkmcnt(1)
	v_pk_mul_f32 v[78:79], v[12:13], v[30:31] op_sel:[1,0]
	v_mov_b32_e32 v71, v15
	v_pk_fma_f32 v[94:95], v[12:13], v[30:31], v[78:79] op_sel:[0,0,1] op_sel_hi:[1,1,0]
	v_pk_fma_f32 v[12:13], v[12:13], v[30:31], v[78:79] op_sel:[0,0,1] op_sel_hi:[0,1,0] neg_lo:[0,0,1] neg_hi:[0,0,1]
	v_pk_mul_f32 v[30:31], v[68:69], v[28:29] op_sel_hi:[0,1]
	v_pk_fma_f32 v[78:79], v[10:11], v[28:29], v[30:31] op_sel:[0,0,1] op_sel_hi:[1,1,0]
	v_pk_fma_f32 v[10:11], v[10:11], v[28:29], v[30:31] op_sel:[0,0,1] op_sel_hi:[0,1,0] neg_lo:[0,0,1] neg_hi:[0,0,1]
	s_waitcnt lgkmcnt(0)
	v_pk_mul_f32 v[28:29], v[8:9], v[22:23] op_sel:[1,0]
	v_mov_b32_e32 v79, v11
	v_pk_fma_f32 v[30:31], v[8:9], v[22:23], v[28:29] op_sel:[0,0,1] op_sel_hi:[0,1,0]
	v_pk_fma_f32 v[8:9], v[8:9], v[22:23], v[28:29] op_sel:[0,0,1] op_sel_hi:[0,1,0] neg_lo:[0,0,1] neg_hi:[0,0,1]
	v_mov_b32_e32 v10, v94
	v_mov_b32_e32 v11, v88
	;; [unrolled: 1-line block ×4, first 2 shown]
	v_pk_add_f32 v[22:23], v[10:11], v[14:15] neg_lo:[0,1] neg_hi:[0,1]
	v_mov_b32_e32 v31, v9
	v_mov_b32_e32 v95, v13
	;; [unrolled: 1-line block ×7, first 2 shown]
	v_pk_add_f32 v[28:29], v[30:31], v[94:95]
	v_pk_add_f32 v[12:13], v[58:59], v[86:87] neg_lo:[0,1] neg_hi:[0,1]
	v_mov_b32_e32 v77, v85
	v_pk_add_f32 v[22:23], v[22:23], v[8:9]
	v_pk_add_f32 v[28:29], v[28:29], v[92:93]
	;; [unrolled: 1-line block ×3, first 2 shown]
	v_pk_add_f32 v[84:85], v[92:93], v[90:91] neg_lo:[0,1] neg_hi:[0,1]
	v_mov_b32_e32 v8, v13
	v_mov_b32_e32 v89, v59
	v_pk_add_f32 v[28:29], v[28:29], v[90:91]
	v_pk_add_f32 v[12:13], v[12:13], v[8:9]
	v_pk_add_f32 v[80:81], v[78:79], v[70:71] neg_lo:[0,1] neg_hi:[0,1]
	v_pk_add_f32 v[90:91], v[82:83], v[76:77] neg_lo:[0,1] neg_hi:[0,1]
	v_fma_f32 v68, -0.5, v74, v30
	v_fma_f32 v73, -0.5, v75, v9
	v_mov_b32_e32 v23, v85
	v_pk_add_f32 v[74:75], v[94:95], v[88:89] neg_lo:[0,1] neg_hi:[0,1]
	v_pk_add_f32 v[80:81], v[80:81], v[90:91]
	v_pk_add_f32 v[90:91], v[70:71], v[76:77]
	v_pk_add_f32 v[92:93], v[78:79], v[82:83] neg_lo:[0,1] neg_hi:[0,1]
	v_pk_mul_f32 v[22:23], v[22:23], s[6:7]
	v_fmamk_f32 v8, v75, 0xbf737871, v68
	v_mov_b32_e32 v13, v84
	v_pk_fma_f32 v[90:91], v[90:91], 0.5, v[20:21] op_sel_hi:[1,0,1] neg_lo:[1,0,0] neg_hi:[1,0,0]
	v_pk_mul_f32 v[96:97], v[92:93], s[8:9] op_sel_hi:[1,0]
	v_sub_f32_e32 v31, v8, v23
	v_pk_mul_f32 v[12:13], v[12:13], s[6:7]
	v_fmamk_f32 v8, v74, 0x3f737871, v73
	v_pk_add_f32 v[98:99], v[90:91], v[96:97] op_sel:[0,1] op_sel_hi:[1,0] neg_lo:[0,1] neg_hi:[0,1]
	v_pk_add_f32 v[90:91], v[90:91], v[96:97] op_sel:[0,1] op_sel_hi:[1,0]
	v_pk_add_f32 v[96:97], v[70:71], v[76:77] neg_lo:[0,1] neg_hi:[0,1]
	v_add_f32_e32 v8, v13, v8
	v_pk_mul_f32 v[100:101], v[96:97], s[2:3] op_sel_hi:[1,0]
	v_add_f32_e32 v8, v12, v8
	v_pk_add_f32 v[90:91], v[90:91], v[100:101] op_sel:[0,1] op_sel_hi:[1,0]
	v_pk_add_f32 v[98:99], v[98:99], v[100:101] op_sel:[0,1] op_sel_hi:[1,0] neg_lo:[0,1] neg_hi:[0,1]
	v_pk_mul_f32 v[100:101], v[8:9], s[2:3] op_sel_hi:[0,1]
	v_add_f32_e32 v8, v22, v31
	v_pk_add_f32 v[10:11], v[14:15], v[10:11] neg_lo:[0,1] neg_hi:[0,1]
	v_pk_fma_f32 v[102:103], v[8:9], s[12:13], v[100:101] neg_lo:[0,0,1] neg_hi:[0,0,1]
	v_pk_fma_f32 v[100:101], v[8:9], s[12:13], v[100:101] op_sel_hi:[0,1,1]
	v_pk_add_f32 v[28:29], v[28:29], v[88:89]
	v_pk_add_f32 v[88:89], v[94:95], v[88:89]
	v_mov_b32_e32 v8, v11
	v_pk_add_f32 v[14:15], v[86:87], v[58:59] neg_lo:[0,1] neg_hi:[0,1]
	v_pk_add_f32 v[10:11], v[10:11], v[8:9]
	v_fmac_f32_e32 v9, -0.5, v89
	v_mov_b32_e32 v8, v15
	v_mov_b32_e32 v105, v91
	;; [unrolled: 1-line block ×3, first 2 shown]
	v_pk_add_f32 v[14:15], v[14:15], v[8:9]
	v_mov_b32_e32 v103, v101
	v_pk_add_f32 v[100:101], v[20:21], v[78:79]
	v_fmac_f32_e32 v91, -0.5, v88
	v_mov_b32_e32 v11, v75
	v_mov_b32_e32 v15, v74
	v_pk_add_f32 v[100:101], v[100:101], v[70:71]
	v_fmamk_f32 v8, v85, 0x3f737871, v91
	v_fmac_f32_e32 v91, 0xbf737871, v85
	v_fmamk_f32 v85, v84, 0xbf737871, v9
	v_pk_mul_f32 v[10:11], v[10:11], s[6:7]
	v_pk_mul_f32 v[14:15], v[14:15], s[6:7]
	v_pk_add_f32 v[100:101], v[100:101], v[76:77]
	v_mov_b32_e32 v104, v98
	v_pk_add_f32 v[30:31], v[70:71], v[78:79] neg_lo:[0,1] neg_hi:[0,1]
	v_sub_f32_e32 v70, v8, v11
	v_add_f32_e32 v8, v15, v85
	v_pk_add_f32 v[100:101], v[100:101], v[82:83]
	v_pk_fma_f32 v[104:105], v[80:81], s[6:7], v[104:105] op_sel_hi:[1,0,1]
	v_fmac_f32_e32 v9, 0x3f737871, v84
	v_pk_add_f32 v[58:59], v[76:77], v[82:83] neg_lo:[0,1] neg_hi:[0,1]
	v_add_f32_e32 v8, v14, v8
	v_pk_add_f32 v[106:107], v[100:101], v[28:29]
	v_pk_add_f32 v[108:109], v[104:105], v[102:103]
	;; [unrolled: 1-line block ×3, first 2 shown]
	v_pk_mul_f32 v[58:59], v[8:9], s[8:9] op_sel_hi:[0,1]
	v_add_f32_e32 v8, v10, v70
	s_barrier
	ds_write2_b64 v43, v[106:107], v[108:109] offset1:10
	v_pk_add_f32 v[106:107], v[78:79], v[82:83]
	v_pk_fma_f32 v[70:71], v[8:9], s[14:15], v[58:59] neg_lo:[0,0,1] neg_hi:[0,0,1]
	v_pk_fma_f32 v[58:59], v[8:9], s[14:15], v[58:59] op_sel_hi:[0,1,1]
	v_pk_fma_f32 v[20:21], v[106:107], 0.5, v[20:21] op_sel_hi:[1,0,1] neg_lo:[1,0,0] neg_hi:[1,0,0]
	v_mov_b32_e32 v71, v59
	v_pk_mul_f32 v[58:59], v[96:97], s[8:9] op_sel_hi:[1,0]
	v_add_f32_e32 v8, v11, v91
	v_sub_f32_e32 v9, v9, v15
	v_pk_add_f32 v[76:77], v[20:21], v[58:59] op_sel:[0,1] op_sel_hi:[1,0]
	v_pk_add_f32 v[20:21], v[20:21], v[58:59] op_sel:[0,1] op_sel_hi:[1,0] neg_lo:[0,1] neg_hi:[0,1]
	v_pk_mul_f32 v[58:59], v[92:93], s[2:3] op_sel_hi:[1,0]
	v_add_f32_e32 v8, v10, v8
	v_add_f32_e32 v10, v14, v9
	v_pk_add_f32 v[20:21], v[20:21], v[58:59] op_sel:[0,1] op_sel_hi:[1,0]
	v_pk_add_f32 v[58:59], v[76:77], v[58:59] op_sel:[0,1] op_sel_hi:[1,0] neg_lo:[0,1] neg_hi:[0,1]
	v_pk_mul_f32 v[10:11], v[10:11], s[8:9] op_sel_hi:[0,1]
	v_pk_fma_f32 v[8:9], v[8:9], s[10:11], v[10:11] op_sel_hi:[0,1,1] neg_lo:[0,0,1] neg_hi:[0,0,1]
	v_mov_b32_e32 v10, v58
	v_mov_b32_e32 v11, v21
	;; [unrolled: 1-line block ×3, first 2 shown]
	v_pk_fma_f32 v[10:11], v[30:31], s[6:7], v[10:11] op_sel_hi:[1,0,1]
	v_pk_fma_f32 v[14:15], v[30:31], s[6:7], v[20:21] op_sel_hi:[1,0,1]
	v_fmac_f32_e32 v73, 0xbf737871, v74
	v_pk_add_f32 v[20:21], v[10:11], v[70:71]
	v_pk_add_f32 v[30:31], v[14:15], v[8:9]
	v_fmac_f32_e32 v68, 0x3f737871, v75
	v_sub_f32_e32 v13, v73, v13
	ds_write2_b64 v43, v[20:21], v[30:31] offset0:20 offset1:30
	v_add_f32_e32 v20, v23, v68
	v_add_f32_e32 v12, v12, v13
	;; [unrolled: 1-line block ×3, first 2 shown]
	v_pk_mul_f32 v[12:13], v[12:13], s[2:3] op_sel_hi:[0,1]
	v_mov_b32_e32 v91, v99
	v_pk_fma_f32 v[12:13], v[20:21], s[16:17], v[12:13] op_sel_hi:[0,1,1] neg_lo:[0,0,1] neg_hi:[0,0,1]
	v_pk_fma_f32 v[20:21], v[80:81], s[6:7], v[90:91] op_sel_hi:[1,0,1]
	v_pk_add_f32 v[22:23], v[100:101], v[28:29] neg_lo:[0,1] neg_hi:[0,1]
	v_pk_add_f32 v[28:29], v[20:21], v[12:13]
	ds_write2_b64 v43, v[28:29], v[22:23] offset0:40 offset1:50
	v_pk_add_f32 v[22:23], v[104:105], v[102:103] neg_lo:[0,1] neg_hi:[0,1]
	v_pk_add_f32 v[10:11], v[10:11], v[70:71] neg_lo:[0,1] neg_hi:[0,1]
	ds_write2_b64 v43, v[22:23], v[10:11] offset0:60 offset1:70
	v_pk_add_f32 v[8:9], v[14:15], v[8:9] neg_lo:[0,1] neg_hi:[0,1]
	v_pk_add_f32 v[10:11], v[20:21], v[12:13] neg_lo:[0,1] neg_hi:[0,1]
	ds_write2_b64 v43, v[8:9], v[10:11] offset0:80 offset1:90
	s_waitcnt lgkmcnt(0)
	s_barrier
	ds_read2_b64 v[8:11], v61 offset0:32 offset1:132
	ds_read2_b64 v[12:15], v63 offset0:88 offset1:188
	s_waitcnt lgkmcnt(1)
	v_pk_mul_f32 v[20:21], v[64:65], v[10:11] op_sel:[1,0]
	s_nop 0
	v_pk_fma_f32 v[22:23], v[64:65], v[10:11], v[20:21] op_sel:[0,0,1] op_sel_hi:[1,1,0]
	v_pk_fma_f32 v[20:21], v[64:65], v[10:11], v[20:21] op_sel:[0,0,1] op_sel_hi:[0,1,0] neg_lo:[0,0,1] neg_hi:[0,0,1]
	v_pk_mul_f32 v[10:11], v[72:73], v[8:9] op_sel_hi:[0,1]
	v_pk_fma_f32 v[28:29], v[26:27], v[8:9], v[10:11] op_sel:[0,0,1] op_sel_hi:[1,1,0]
	v_pk_fma_f32 v[26:27], v[26:27], v[8:9], v[10:11] op_sel:[0,0,1] op_sel_hi:[0,1,0] neg_lo:[0,0,1] neg_hi:[0,0,1]
	ds_read2_b64 v[8:11], v67 offset0:144 offset1:244
	s_waitcnt lgkmcnt(1)
	v_pk_mul_f32 v[30:31], v[24:25], v[14:15] op_sel:[1,0]
	v_mov_b32_e32 v29, v27
	v_pk_fma_f32 v[58:59], v[24:25], v[14:15], v[30:31] op_sel:[0,0,1] op_sel_hi:[1,1,0]
	v_pk_fma_f32 v[24:25], v[24:25], v[14:15], v[30:31] op_sel:[0,0,1] op_sel_hi:[0,1,0] neg_lo:[0,0,1] neg_hi:[0,0,1]
	v_pk_mul_f32 v[14:15], v[66:67], v[12:13] op_sel_hi:[0,1]
	v_pk_fma_f32 v[30:31], v[18:19], v[12:13], v[14:15] op_sel:[0,0,1] op_sel_hi:[1,1,0]
	v_pk_fma_f32 v[18:19], v[18:19], v[12:13], v[14:15] op_sel:[0,0,1] op_sel_hi:[0,1,0] neg_lo:[0,0,1] neg_hi:[0,0,1]
	s_waitcnt lgkmcnt(0)
	v_pk_mul_f32 v[64:65], v[16:17], v[10:11] op_sel:[1,0]
	ds_read2_b64 v[12:15], v69 offset0:72 offset1:172
	v_pk_fma_f32 v[70:71], v[16:17], v[10:11], v[64:65] op_sel:[0,0,1] op_sel_hi:[1,1,0]
	v_pk_fma_f32 v[10:11], v[16:17], v[10:11], v[64:65] op_sel:[0,0,1] op_sel_hi:[0,1,0] neg_lo:[0,0,1] neg_hi:[0,0,1]
	v_pk_mul_f32 v[16:17], v[62:63], v[8:9] op_sel_hi:[0,1]
	v_pk_fma_f32 v[64:65], v[6:7], v[8:9], v[16:17] op_sel:[0,0,1] op_sel_hi:[1,1,0]
	v_pk_fma_f32 v[16:17], v[6:7], v[8:9], v[16:17] op_sel:[0,0,1] op_sel_hi:[0,1,0] neg_lo:[0,0,1] neg_hi:[0,0,1]
	ds_read2_b64 v[6:9], v38 offset1:100
	s_waitcnt lgkmcnt(1)
	v_pk_mul_f32 v[72:73], v[4:5], v[14:15] op_sel:[1,0]
	v_mov_b32_e32 v24, v11
	v_pk_fma_f32 v[74:75], v[4:5], v[14:15], v[72:73] op_sel:[0,0,1] op_sel_hi:[1,1,0]
	v_pk_fma_f32 v[4:5], v[4:5], v[14:15], v[72:73] op_sel:[0,0,1] op_sel_hi:[0,1,0] neg_lo:[0,0,1] neg_hi:[0,0,1]
	v_pk_mul_f32 v[14:15], v[60:61], v[12:13] op_sel_hi:[0,1]
	v_pk_fma_f32 v[72:73], v[2:3], v[12:13], v[14:15] op_sel:[0,0,1] op_sel_hi:[1,1,0]
	v_pk_fma_f32 v[2:3], v[2:3], v[12:13], v[14:15] op_sel:[0,0,1] op_sel_hi:[0,1,0] neg_lo:[0,0,1] neg_hi:[0,0,1]
	s_waitcnt lgkmcnt(0)
	v_pk_mul_f32 v[12:13], v[0:1], v[8:9] op_sel:[1,0]
	v_mov_b32_e32 v73, v3
	v_pk_fma_f32 v[14:15], v[0:1], v[8:9], v[12:13] op_sel:[0,0,1] op_sel_hi:[0,1,0]
	v_pk_fma_f32 v[0:1], v[0:1], v[8:9], v[12:13] op_sel:[0,0,1] op_sel_hi:[0,1,0] neg_lo:[0,0,1] neg_hi:[0,0,1]
	v_mov_b32_e32 v2, v74
	v_mov_b32_e32 v3, v22
	v_mov_b32_e32 v8, v70
	v_mov_b32_e32 v9, v58
	v_pk_add_f32 v[12:13], v[2:3], v[8:9] neg_lo:[0,1] neg_hi:[0,1]
	v_mov_b32_e32 v15, v1
	v_mov_b32_e32 v75, v5
	;; [unrolled: 1-line block ×7, first 2 shown]
	v_pk_add_f32 v[16:17], v[14:15], v[74:75]
	v_pk_add_f32 v[4:5], v[20:21], v[24:25] neg_lo:[0,1] neg_hi:[0,1]
	v_mov_b32_e32 v31, v19
	v_pk_add_f32 v[12:13], v[12:13], v[0:1]
	v_pk_add_f32 v[16:17], v[16:17], v[70:71]
	;; [unrolled: 1-line block ×3, first 2 shown]
	v_pk_add_f32 v[26:27], v[70:71], v[58:59] neg_lo:[0,1] neg_hi:[0,1]
	v_mov_b32_e32 v0, v5
	v_mov_b32_e32 v23, v21
	v_pk_add_f32 v[16:17], v[16:17], v[58:59]
	v_pk_add_f32 v[4:5], v[4:5], v[0:1]
	v_pk_add_f32 v[10:11], v[72:73], v[64:65] neg_lo:[0,1] neg_hi:[0,1]
	v_pk_add_f32 v[58:59], v[28:29], v[30:31] neg_lo:[0,1] neg_hi:[0,1]
	v_fma_f32 v43, -0.5, v18, v14
	v_fma_f32 v60, -0.5, v19, v1
	v_mov_b32_e32 v13, v27
	v_pk_add_f32 v[18:19], v[74:75], v[22:23] neg_lo:[0,1] neg_hi:[0,1]
	v_pk_add_f32 v[10:11], v[10:11], v[58:59]
	v_pk_add_f32 v[58:59], v[64:65], v[30:31]
	v_pk_add_f32 v[70:71], v[72:73], v[28:29] neg_lo:[0,1] neg_hi:[0,1]
	v_pk_mul_f32 v[12:13], v[12:13], s[6:7]
	v_fmamk_f32 v0, v19, 0xbf737871, v43
	v_mov_b32_e32 v5, v26
	v_pk_fma_f32 v[58:59], v[58:59], 0.5, v[6:7] op_sel_hi:[1,0,1] neg_lo:[1,0,0] neg_hi:[1,0,0]
	v_pk_mul_f32 v[76:77], v[70:71], s[8:9] op_sel_hi:[1,0]
	v_sub_f32_e32 v15, v0, v13
	v_pk_mul_f32 v[4:5], v[4:5], s[6:7]
	v_fmamk_f32 v0, v18, 0x3f737871, v60
	v_pk_add_f32 v[78:79], v[58:59], v[76:77] op_sel:[0,1] op_sel_hi:[1,0] neg_lo:[0,1] neg_hi:[0,1]
	v_pk_add_f32 v[58:59], v[58:59], v[76:77] op_sel:[0,1] op_sel_hi:[1,0]
	v_pk_add_f32 v[76:77], v[64:65], v[30:31] neg_lo:[0,1] neg_hi:[0,1]
	v_add_f32_e32 v0, v5, v0
	v_pk_mul_f32 v[80:81], v[76:77], s[2:3] op_sel_hi:[1,0]
	v_add_f32_e32 v0, v4, v0
	v_pk_add_f32 v[58:59], v[58:59], v[80:81] op_sel:[0,1] op_sel_hi:[1,0]
	v_pk_add_f32 v[78:79], v[78:79], v[80:81] op_sel:[0,1] op_sel_hi:[1,0] neg_lo:[0,1] neg_hi:[0,1]
	v_pk_mul_f32 v[80:81], v[0:1], s[2:3] op_sel_hi:[0,1]
	v_add_f32_e32 v0, v12, v15
	v_pk_add_f32 v[2:3], v[8:9], v[2:3] neg_lo:[0,1] neg_hi:[0,1]
	v_pk_fma_f32 v[82:83], v[0:1], s[12:13], v[80:81] neg_lo:[0,0,1] neg_hi:[0,0,1]
	v_pk_fma_f32 v[80:81], v[0:1], s[12:13], v[80:81] op_sel_hi:[0,1,1]
	v_pk_add_f32 v[16:17], v[16:17], v[22:23]
	v_pk_add_f32 v[22:23], v[74:75], v[22:23]
	v_mov_b32_e32 v0, v3
	v_pk_add_f32 v[8:9], v[24:25], v[20:21] neg_lo:[0,1] neg_hi:[0,1]
	v_pk_add_f32 v[2:3], v[2:3], v[0:1]
	v_fmac_f32_e32 v1, -0.5, v23
	v_mov_b32_e32 v0, v9
	v_mov_b32_e32 v85, v59
	;; [unrolled: 1-line block ×3, first 2 shown]
	v_pk_add_f32 v[8:9], v[8:9], v[0:1]
	v_mov_b32_e32 v83, v81
	v_pk_add_f32 v[80:81], v[6:7], v[72:73]
	v_fmac_f32_e32 v59, -0.5, v22
	v_mov_b32_e32 v3, v19
	v_mov_b32_e32 v9, v18
	v_pk_add_f32 v[80:81], v[80:81], v[64:65]
	v_fmamk_f32 v0, v27, 0x3f737871, v59
	v_fmamk_f32 v22, v26, 0xbf737871, v1
	v_pk_mul_f32 v[2:3], v[2:3], s[6:7]
	v_pk_mul_f32 v[8:9], v[8:9], s[6:7]
	v_pk_add_f32 v[80:81], v[80:81], v[30:31]
	v_mov_b32_e32 v84, v78
	v_sub_f32_e32 v23, v0, v3
	v_add_f32_e32 v0, v9, v22
	v_pk_add_f32 v[80:81], v[80:81], v[28:29]
	v_pk_fma_f32 v[84:85], v[10:11], s[6:7], v[84:85] op_sel_hi:[1,0,1]
	v_fmac_f32_e32 v1, 0x3f737871, v26
	v_pk_add_f32 v[14:15], v[64:65], v[72:73] neg_lo:[0,1] neg_hi:[0,1]
	v_pk_add_f32 v[20:21], v[30:31], v[28:29] neg_lo:[0,1] neg_hi:[0,1]
	v_add_f32_e32 v0, v8, v0
	v_pk_add_f32 v[86:87], v[80:81], v[16:17]
	v_pk_add_f32 v[88:89], v[84:85], v[82:83]
	;; [unrolled: 1-line block ×3, first 2 shown]
	v_pk_mul_f32 v[20:21], v[0:1], s[8:9] op_sel_hi:[0,1]
	v_add_f32_e32 v0, v2, v23
	ds_write2_b64 v38, v[86:87], v[88:89] offset1:100
	v_pk_add_f32 v[86:87], v[72:73], v[28:29]
	v_fmac_f32_e32 v59, 0xbf737871, v27
	v_pk_fma_f32 v[22:23], v[0:1], s[14:15], v[20:21] neg_lo:[0,0,1] neg_hi:[0,0,1]
	v_pk_fma_f32 v[20:21], v[0:1], s[14:15], v[20:21] op_sel_hi:[0,1,1]
	v_pk_fma_f32 v[6:7], v[86:87], 0.5, v[6:7] op_sel_hi:[1,0,1] neg_lo:[1,0,0] neg_hi:[1,0,0]
	v_mov_b32_e32 v23, v21
	v_pk_mul_f32 v[20:21], v[76:77], s[8:9] op_sel_hi:[1,0]
	v_add_f32_e32 v0, v3, v59
	v_sub_f32_e32 v1, v1, v9
	v_pk_add_f32 v[24:25], v[6:7], v[20:21] op_sel:[0,1] op_sel_hi:[1,0]
	v_pk_add_f32 v[6:7], v[6:7], v[20:21] op_sel:[0,1] op_sel_hi:[1,0] neg_lo:[0,1] neg_hi:[0,1]
	v_pk_mul_f32 v[20:21], v[70:71], s[2:3] op_sel_hi:[1,0]
	v_add_f32_e32 v0, v2, v0
	v_add_f32_e32 v2, v8, v1
	v_pk_add_f32 v[6:7], v[6:7], v[20:21] op_sel:[0,1] op_sel_hi:[1,0]
	v_pk_add_f32 v[20:21], v[24:25], v[20:21] op_sel:[0,1] op_sel_hi:[1,0] neg_lo:[0,1] neg_hi:[0,1]
	v_pk_mul_f32 v[2:3], v[2:3], s[8:9] op_sel_hi:[0,1]
	v_pk_fma_f32 v[0:1], v[0:1], s[10:11], v[2:3] op_sel_hi:[0,1,1] neg_lo:[0,0,1] neg_hi:[0,0,1]
	v_mov_b32_e32 v2, v20
	v_mov_b32_e32 v3, v7
	;; [unrolled: 1-line block ×3, first 2 shown]
	v_pk_fma_f32 v[2:3], v[14:15], s[6:7], v[2:3] op_sel_hi:[1,0,1]
	v_pk_fma_f32 v[6:7], v[14:15], s[6:7], v[6:7] op_sel_hi:[1,0,1]
	v_fmac_f32_e32 v60, 0xbf737871, v18
	v_pk_add_f32 v[8:9], v[2:3], v[22:23]
	v_pk_add_f32 v[14:15], v[6:7], v[0:1]
	v_fmac_f32_e32 v43, 0x3f737871, v19
	v_sub_f32_e32 v5, v60, v5
	ds_write2_b64 v69, v[8:9], v[14:15] offset0:72 offset1:172
	v_add_f32_e32 v8, v13, v43
	v_add_f32_e32 v4, v4, v5
	;; [unrolled: 1-line block ×3, first 2 shown]
	v_pk_mul_f32 v[4:5], v[4:5], s[2:3] op_sel_hi:[0,1]
	v_mov_b32_e32 v59, v79
	v_pk_fma_f32 v[4:5], v[8:9], s[16:17], v[4:5] op_sel_hi:[0,1,1] neg_lo:[0,0,1] neg_hi:[0,0,1]
	v_pk_fma_f32 v[8:9], v[10:11], s[6:7], v[58:59] op_sel_hi:[1,0,1]
	v_pk_add_f32 v[12:13], v[80:81], v[16:17] neg_lo:[0,1] neg_hi:[0,1]
	v_pk_add_f32 v[10:11], v[8:9], v[4:5]
	ds_write2_b64 v67, v[10:11], v[12:13] offset0:144 offset1:244
	v_pk_add_f32 v[10:11], v[84:85], v[82:83] neg_lo:[0,1] neg_hi:[0,1]
	v_pk_add_f32 v[2:3], v[2:3], v[22:23] neg_lo:[0,1] neg_hi:[0,1]
	ds_write2_b64 v63, v[10:11], v[2:3] offset0:88 offset1:188
	v_pk_add_f32 v[0:1], v[6:7], v[0:1] neg_lo:[0,1] neg_hi:[0,1]
	v_pk_add_f32 v[2:3], v[8:9], v[4:5] neg_lo:[0,1] neg_hi:[0,1]
	ds_write2_b64 v61, v[0:1], v[2:3] offset0:32 offset1:132
	s_waitcnt lgkmcnt(0)
	s_barrier
	ds_read2_b64 v[0:3], v38 offset1:100
	v_mov_b32_e32 v4, s0
	v_mov_b32_e32 v5, s1
	s_mov_b32 s0, 0xd2f1a9fc
	s_mov_b32 s1, 0x3f50624d
	s_waitcnt lgkmcnt(0)
	v_mul_f32_e32 v6, v57, v1
	v_fmac_f32_e32 v6, v56, v0
	v_mul_f32_e32 v0, v57, v0
	v_fma_f32 v0, v56, v1, -v0
	v_cvt_f64_f32_e32 v[6:7], v6
	v_cvt_f64_f32_e32 v[0:1], v0
	v_mul_f64 v[6:7], v[6:7], s[0:1]
	v_mul_f64 v[0:1], v[0:1], s[0:1]
	v_cvt_f32_f64_e32 v6, v[6:7]
	v_cvt_f32_f64_e32 v7, v[0:1]
	v_mad_u64_u32 v[0:1], s[2:3], s4, v53, 0
	v_mov_b32_e32 v8, v1
	v_mov_b32_e32 v43, v52
	v_mad_u64_u32 v[8:9], s[2:3], s5, v53, v[8:9]
	v_mov_b32_e32 v1, v8
	v_lshl_add_u64 v[4:5], v[42:43], 3, v[4:5]
	v_lshl_add_u64 v[4:5], v[0:1], 3, v[4:5]
	v_mul_f32_e32 v0, v55, v3
	v_fmac_f32_e32 v0, v54, v2
	v_cvt_f64_f32_e32 v[0:1], v0
	v_mul_f64 v[0:1], v[0:1], s[0:1]
	global_store_dwordx2 v[4:5], v[6:7], off
	v_cvt_f32_f64_e32 v6, v[0:1]
	v_mul_f32_e32 v0, v55, v2
	v_fma_f32 v0, v54, v3, -v0
	v_cvt_f64_f32_e32 v[0:1], v0
	v_mul_f64 v[0:1], v[0:1], s[0:1]
	v_cvt_f32_f64_e32 v7, v[0:1]
	ds_read2_b64 v[0:3], v69 offset0:72 offset1:172
	v_mad_u64_u32 v[4:5], s[2:3], s4, v39, v[4:5]
	s_mulk_i32 s5, 0x320
	v_add_u32_e32 v5, s5, v5
	global_store_dwordx2 v[4:5], v[6:7], off
	s_waitcnt lgkmcnt(0)
	v_mul_f32_e32 v6, v51, v1
	v_fmac_f32_e32 v6, v50, v0
	v_mul_f32_e32 v0, v51, v0
	v_fma_f32 v0, v50, v1, -v0
	v_cvt_f64_f32_e32 v[6:7], v6
	v_cvt_f64_f32_e32 v[0:1], v0
	v_mul_f64 v[6:7], v[6:7], s[0:1]
	v_mul_f64 v[0:1], v[0:1], s[0:1]
	v_cvt_f32_f64_e32 v6, v[6:7]
	v_cvt_f32_f64_e32 v7, v[0:1]
	v_mul_f32_e32 v0, v47, v3
	v_fmac_f32_e32 v0, v46, v2
	v_mad_u64_u32 v[4:5], s[2:3], s4, v39, v[4:5]
	v_cvt_f64_f32_e32 v[0:1], v0
	v_add_u32_e32 v5, s5, v5
	v_mul_f64 v[0:1], v[0:1], s[0:1]
	global_store_dwordx2 v[4:5], v[6:7], off
	v_cvt_f32_f64_e32 v6, v[0:1]
	v_mul_f32_e32 v0, v47, v2
	v_fma_f32 v0, v46, v3, -v0
	v_cvt_f64_f32_e32 v[0:1], v0
	v_mul_f64 v[0:1], v[0:1], s[0:1]
	v_cvt_f32_f64_e32 v7, v[0:1]
	ds_read2_b64 v[0:3], v67 offset0:144 offset1:244
	v_mad_u64_u32 v[4:5], s[2:3], s4, v39, v[4:5]
	v_add_u32_e32 v5, s5, v5
	global_store_dwordx2 v[4:5], v[6:7], off
	s_waitcnt lgkmcnt(0)
	v_mul_f32_e32 v6, v49, v1
	v_fmac_f32_e32 v6, v48, v0
	v_mul_f32_e32 v0, v49, v0
	v_fma_f32 v0, v48, v1, -v0
	v_cvt_f64_f32_e32 v[6:7], v6
	v_cvt_f64_f32_e32 v[0:1], v0
	v_mul_f64 v[6:7], v[6:7], s[0:1]
	v_mul_f64 v[0:1], v[0:1], s[0:1]
	v_cvt_f32_f64_e32 v6, v[6:7]
	v_cvt_f32_f64_e32 v7, v[0:1]
	v_mul_f32_e32 v0, v45, v3
	v_fmac_f32_e32 v0, v44, v2
	v_mad_u64_u32 v[4:5], s[2:3], s4, v39, v[4:5]
	v_cvt_f64_f32_e32 v[0:1], v0
	v_add_u32_e32 v5, s5, v5
	v_mul_f64 v[0:1], v[0:1], s[0:1]
	global_store_dwordx2 v[4:5], v[6:7], off
	v_cvt_f32_f64_e32 v6, v[0:1]
	v_mul_f32_e32 v0, v45, v2
	v_fma_f32 v0, v44, v3, -v0
	v_cvt_f64_f32_e32 v[0:1], v0
	v_mul_f64 v[0:1], v[0:1], s[0:1]
	v_cvt_f32_f64_e32 v7, v[0:1]
	ds_read2_b64 v[0:3], v63 offset0:88 offset1:188
	v_mad_u64_u32 v[4:5], s[2:3], s4, v39, v[4:5]
	;; [unrolled: 28-line block ×3, first 2 shown]
	v_add_u32_e32 v5, s5, v5
	global_store_dwordx2 v[4:5], v[6:7], off
	s_waitcnt lgkmcnt(0)
	v_mul_f32_e32 v6, v35, v1
	v_fmac_f32_e32 v6, v34, v0
	v_mul_f32_e32 v0, v35, v0
	v_fma_f32 v0, v34, v1, -v0
	v_cvt_f64_f32_e32 v[6:7], v6
	v_cvt_f64_f32_e32 v[0:1], v0
	v_mul_f64 v[6:7], v[6:7], s[0:1]
	v_mul_f64 v[0:1], v[0:1], s[0:1]
	v_cvt_f32_f64_e32 v6, v[6:7]
	v_cvt_f32_f64_e32 v7, v[0:1]
	v_mad_u64_u32 v[0:1], s[2:3], s4, v39, v[4:5]
	v_mul_f32_e32 v4, v33, v3
	v_fmac_f32_e32 v4, v32, v2
	v_mul_f32_e32 v2, v33, v2
	v_fma_f32 v2, v32, v3, -v2
	v_add_u32_e32 v1, s5, v1
	v_cvt_f64_f32_e32 v[4:5], v4
	v_cvt_f64_f32_e32 v[2:3], v2
	global_store_dwordx2 v[0:1], v[6:7], off
	v_mul_f64 v[4:5], v[4:5], s[0:1]
	v_mul_f64 v[2:3], v[2:3], s[0:1]
	v_mad_u64_u32 v[0:1], s[0:1], s4, v39, v[0:1]
	v_cvt_f32_f64_e32 v4, v[4:5]
	v_cvt_f32_f64_e32 v5, v[2:3]
	v_add_u32_e32 v1, s5, v1
	global_store_dwordx2 v[0:1], v[4:5], off
.LBB0_2:
	s_endpgm
	.section	.rodata,"a",@progbits
	.p2align	6, 0x0
	.amdhsa_kernel bluestein_single_fwd_len1000_dim1_sp_op_CI_CI
		.amdhsa_group_segment_fixed_size 8000
		.amdhsa_private_segment_fixed_size 0
		.amdhsa_kernarg_size 104
		.amdhsa_user_sgpr_count 2
		.amdhsa_user_sgpr_dispatch_ptr 0
		.amdhsa_user_sgpr_queue_ptr 0
		.amdhsa_user_sgpr_kernarg_segment_ptr 1
		.amdhsa_user_sgpr_dispatch_id 0
		.amdhsa_user_sgpr_kernarg_preload_length 0
		.amdhsa_user_sgpr_kernarg_preload_offset 0
		.amdhsa_user_sgpr_private_segment_size 0
		.amdhsa_uses_dynamic_stack 0
		.amdhsa_enable_private_segment 0
		.amdhsa_system_sgpr_workgroup_id_x 1
		.amdhsa_system_sgpr_workgroup_id_y 0
		.amdhsa_system_sgpr_workgroup_id_z 0
		.amdhsa_system_sgpr_workgroup_info 0
		.amdhsa_system_vgpr_workitem_id 0
		.amdhsa_next_free_vgpr 134
		.amdhsa_next_free_sgpr 20
		.amdhsa_accum_offset 136
		.amdhsa_reserve_vcc 1
		.amdhsa_float_round_mode_32 0
		.amdhsa_float_round_mode_16_64 0
		.amdhsa_float_denorm_mode_32 3
		.amdhsa_float_denorm_mode_16_64 3
		.amdhsa_dx10_clamp 1
		.amdhsa_ieee_mode 1
		.amdhsa_fp16_overflow 0
		.amdhsa_tg_split 0
		.amdhsa_exception_fp_ieee_invalid_op 0
		.amdhsa_exception_fp_denorm_src 0
		.amdhsa_exception_fp_ieee_div_zero 0
		.amdhsa_exception_fp_ieee_overflow 0
		.amdhsa_exception_fp_ieee_underflow 0
		.amdhsa_exception_fp_ieee_inexact 0
		.amdhsa_exception_int_div_zero 0
	.end_amdhsa_kernel
	.text
.Lfunc_end0:
	.size	bluestein_single_fwd_len1000_dim1_sp_op_CI_CI, .Lfunc_end0-bluestein_single_fwd_len1000_dim1_sp_op_CI_CI
                                        ; -- End function
	.section	.AMDGPU.csdata,"",@progbits
; Kernel info:
; codeLenInByte = 8780
; NumSgprs: 26
; NumVgprs: 134
; NumAgprs: 0
; TotalNumVgprs: 134
; ScratchSize: 0
; MemoryBound: 0
; FloatMode: 240
; IeeeMode: 1
; LDSByteSize: 8000 bytes/workgroup (compile time only)
; SGPRBlocks: 3
; VGPRBlocks: 16
; NumSGPRsForWavesPerEU: 26
; NumVGPRsForWavesPerEU: 134
; AccumOffset: 136
; Occupancy: 3
; WaveLimiterHint : 1
; COMPUTE_PGM_RSRC2:SCRATCH_EN: 0
; COMPUTE_PGM_RSRC2:USER_SGPR: 2
; COMPUTE_PGM_RSRC2:TRAP_HANDLER: 0
; COMPUTE_PGM_RSRC2:TGID_X_EN: 1
; COMPUTE_PGM_RSRC2:TGID_Y_EN: 0
; COMPUTE_PGM_RSRC2:TGID_Z_EN: 0
; COMPUTE_PGM_RSRC2:TIDIG_COMP_CNT: 0
; COMPUTE_PGM_RSRC3_GFX90A:ACCUM_OFFSET: 33
; COMPUTE_PGM_RSRC3_GFX90A:TG_SPLIT: 0
	.text
	.p2alignl 6, 3212836864
	.fill 256, 4, 3212836864
	.type	__hip_cuid_e96ff4bbca8444de,@object ; @__hip_cuid_e96ff4bbca8444de
	.section	.bss,"aw",@nobits
	.globl	__hip_cuid_e96ff4bbca8444de
__hip_cuid_e96ff4bbca8444de:
	.byte	0                               ; 0x0
	.size	__hip_cuid_e96ff4bbca8444de, 1

	.ident	"AMD clang version 19.0.0git (https://github.com/RadeonOpenCompute/llvm-project roc-6.4.0 25133 c7fe45cf4b819c5991fe208aaa96edf142730f1d)"
	.section	".note.GNU-stack","",@progbits
	.addrsig
	.addrsig_sym __hip_cuid_e96ff4bbca8444de
	.amdgpu_metadata
---
amdhsa.kernels:
  - .agpr_count:     0
    .args:
      - .actual_access:  read_only
        .address_space:  global
        .offset:         0
        .size:           8
        .value_kind:     global_buffer
      - .actual_access:  read_only
        .address_space:  global
        .offset:         8
        .size:           8
        .value_kind:     global_buffer
      - .actual_access:  read_only
        .address_space:  global
        .offset:         16
        .size:           8
        .value_kind:     global_buffer
      - .actual_access:  read_only
        .address_space:  global
        .offset:         24
        .size:           8
        .value_kind:     global_buffer
      - .actual_access:  read_only
        .address_space:  global
        .offset:         32
        .size:           8
        .value_kind:     global_buffer
      - .offset:         40
        .size:           8
        .value_kind:     by_value
      - .address_space:  global
        .offset:         48
        .size:           8
        .value_kind:     global_buffer
      - .address_space:  global
        .offset:         56
        .size:           8
        .value_kind:     global_buffer
      - .address_space:  global
        .offset:         64
        .size:           8
        .value_kind:     global_buffer
      - .address_space:  global
        .offset:         72
        .size:           8
        .value_kind:     global_buffer
      - .offset:         80
        .size:           4
        .value_kind:     by_value
      - .address_space:  global
        .offset:         88
        .size:           8
        .value_kind:     global_buffer
      - .address_space:  global
        .offset:         96
        .size:           8
        .value_kind:     global_buffer
    .group_segment_fixed_size: 8000
    .kernarg_segment_align: 8
    .kernarg_segment_size: 104
    .language:       OpenCL C
    .language_version:
      - 2
      - 0
    .max_flat_workgroup_size: 100
    .name:           bluestein_single_fwd_len1000_dim1_sp_op_CI_CI
    .private_segment_fixed_size: 0
    .sgpr_count:     26
    .sgpr_spill_count: 0
    .symbol:         bluestein_single_fwd_len1000_dim1_sp_op_CI_CI.kd
    .uniform_work_group_size: 1
    .uses_dynamic_stack: false
    .vgpr_count:     134
    .vgpr_spill_count: 0
    .wavefront_size: 64
amdhsa.target:   amdgcn-amd-amdhsa--gfx950
amdhsa.version:
  - 1
  - 2
...

	.end_amdgpu_metadata
